;; amdgpu-corpus repo=ROCm/rocFFT kind=compiled arch=gfx1030 opt=O3
	.text
	.amdgcn_target "amdgcn-amd-amdhsa--gfx1030"
	.amdhsa_code_object_version 6
	.protected	fft_rtc_back_len2880_factors_10_6_6_2_2_2_wgs_96_tpt_96_halfLds_half_op_CI_CI_unitstride_sbrr_dirReg ; -- Begin function fft_rtc_back_len2880_factors_10_6_6_2_2_2_wgs_96_tpt_96_halfLds_half_op_CI_CI_unitstride_sbrr_dirReg
	.globl	fft_rtc_back_len2880_factors_10_6_6_2_2_2_wgs_96_tpt_96_halfLds_half_op_CI_CI_unitstride_sbrr_dirReg
	.p2align	8
	.type	fft_rtc_back_len2880_factors_10_6_6_2_2_2_wgs_96_tpt_96_halfLds_half_op_CI_CI_unitstride_sbrr_dirReg,@function
fft_rtc_back_len2880_factors_10_6_6_2_2_2_wgs_96_tpt_96_halfLds_half_op_CI_CI_unitstride_sbrr_dirReg: ; @fft_rtc_back_len2880_factors_10_6_6_2_2_2_wgs_96_tpt_96_halfLds_half_op_CI_CI_unitstride_sbrr_dirReg
; %bb.0:
	s_clause 0x2
	s_load_dwordx4 s[12:15], s[4:5], 0x0
	s_load_dwordx4 s[8:11], s[4:5], 0x58
	;; [unrolled: 1-line block ×3, first 2 shown]
	v_mul_u32_u24_e32 v1, 0x2ab, v0
	v_mov_b32_e32 v3, 0
	v_add_nc_u32_sdwa v5, s6, v1 dst_sel:DWORD dst_unused:UNUSED_PAD src0_sel:DWORD src1_sel:WORD_1
	v_mov_b32_e32 v1, 0
	v_mov_b32_e32 v6, v3
	v_mov_b32_e32 v2, 0
	s_waitcnt lgkmcnt(0)
	v_cmp_lt_u64_e64 s0, s[14:15], 2
	s_and_b32 vcc_lo, exec_lo, s0
	s_cbranch_vccnz .LBB0_8
; %bb.1:
	s_load_dwordx2 s[0:1], s[4:5], 0x10
	v_mov_b32_e32 v1, 0
	v_mov_b32_e32 v2, 0
	s_add_u32 s2, s18, 8
	s_addc_u32 s3, s19, 0
	s_add_u32 s6, s16, 8
	s_addc_u32 s7, s17, 0
	v_mov_b32_e32 v23, v2
	v_mov_b32_e32 v22, v1
	s_mov_b64 s[22:23], 1
	s_waitcnt lgkmcnt(0)
	s_add_u32 s20, s0, 8
	s_addc_u32 s21, s1, 0
.LBB0_2:                                ; =>This Inner Loop Header: Depth=1
	s_load_dwordx2 s[24:25], s[20:21], 0x0
                                        ; implicit-def: $vgpr24_vgpr25
	s_mov_b32 s0, exec_lo
	s_waitcnt lgkmcnt(0)
	v_or_b32_e32 v4, s25, v6
	v_cmpx_ne_u64_e32 0, v[3:4]
	s_xor_b32 s1, exec_lo, s0
	s_cbranch_execz .LBB0_4
; %bb.3:                                ;   in Loop: Header=BB0_2 Depth=1
	v_cvt_f32_u32_e32 v4, s24
	v_cvt_f32_u32_e32 v7, s25
	s_sub_u32 s0, 0, s24
	s_subb_u32 s26, 0, s25
	v_fmac_f32_e32 v4, 0x4f800000, v7
	v_rcp_f32_e32 v4, v4
	v_mul_f32_e32 v4, 0x5f7ffffc, v4
	v_mul_f32_e32 v7, 0x2f800000, v4
	v_trunc_f32_e32 v7, v7
	v_fmac_f32_e32 v4, 0xcf800000, v7
	v_cvt_u32_f32_e32 v7, v7
	v_cvt_u32_f32_e32 v4, v4
	v_mul_lo_u32 v8, s0, v7
	v_mul_hi_u32 v9, s0, v4
	v_mul_lo_u32 v10, s26, v4
	v_add_nc_u32_e32 v8, v9, v8
	v_mul_lo_u32 v9, s0, v4
	v_add_nc_u32_e32 v8, v8, v10
	v_mul_hi_u32 v10, v4, v9
	v_mul_lo_u32 v11, v4, v8
	v_mul_hi_u32 v12, v4, v8
	v_mul_hi_u32 v13, v7, v9
	v_mul_lo_u32 v9, v7, v9
	v_mul_hi_u32 v14, v7, v8
	v_mul_lo_u32 v8, v7, v8
	v_add_co_u32 v10, vcc_lo, v10, v11
	v_add_co_ci_u32_e32 v11, vcc_lo, 0, v12, vcc_lo
	v_add_co_u32 v9, vcc_lo, v10, v9
	v_add_co_ci_u32_e32 v9, vcc_lo, v11, v13, vcc_lo
	v_add_co_ci_u32_e32 v10, vcc_lo, 0, v14, vcc_lo
	v_add_co_u32 v8, vcc_lo, v9, v8
	v_add_co_ci_u32_e32 v9, vcc_lo, 0, v10, vcc_lo
	v_add_co_u32 v4, vcc_lo, v4, v8
	v_add_co_ci_u32_e32 v7, vcc_lo, v7, v9, vcc_lo
	v_mul_hi_u32 v8, s0, v4
	v_mul_lo_u32 v10, s26, v4
	v_mul_lo_u32 v9, s0, v7
	v_add_nc_u32_e32 v8, v8, v9
	v_mul_lo_u32 v9, s0, v4
	v_add_nc_u32_e32 v8, v8, v10
	v_mul_hi_u32 v10, v4, v9
	v_mul_lo_u32 v11, v4, v8
	v_mul_hi_u32 v12, v4, v8
	v_mul_hi_u32 v13, v7, v9
	v_mul_lo_u32 v9, v7, v9
	v_mul_hi_u32 v14, v7, v8
	v_mul_lo_u32 v8, v7, v8
	v_add_co_u32 v10, vcc_lo, v10, v11
	v_add_co_ci_u32_e32 v11, vcc_lo, 0, v12, vcc_lo
	v_add_co_u32 v9, vcc_lo, v10, v9
	v_add_co_ci_u32_e32 v9, vcc_lo, v11, v13, vcc_lo
	v_add_co_ci_u32_e32 v10, vcc_lo, 0, v14, vcc_lo
	v_add_co_u32 v8, vcc_lo, v9, v8
	v_add_co_ci_u32_e32 v9, vcc_lo, 0, v10, vcc_lo
	v_add_co_u32 v4, vcc_lo, v4, v8
	v_add_co_ci_u32_e32 v11, vcc_lo, v7, v9, vcc_lo
	v_mul_hi_u32 v13, v5, v4
	v_mad_u64_u32 v[9:10], null, v6, v4, 0
	v_mad_u64_u32 v[7:8], null, v5, v11, 0
	;; [unrolled: 1-line block ×3, first 2 shown]
	v_add_co_u32 v4, vcc_lo, v13, v7
	v_add_co_ci_u32_e32 v7, vcc_lo, 0, v8, vcc_lo
	v_add_co_u32 v4, vcc_lo, v4, v9
	v_add_co_ci_u32_e32 v4, vcc_lo, v7, v10, vcc_lo
	v_add_co_ci_u32_e32 v7, vcc_lo, 0, v12, vcc_lo
	v_add_co_u32 v4, vcc_lo, v4, v11
	v_add_co_ci_u32_e32 v9, vcc_lo, 0, v7, vcc_lo
	v_mul_lo_u32 v10, s25, v4
	v_mad_u64_u32 v[7:8], null, s24, v4, 0
	v_mul_lo_u32 v11, s24, v9
	v_sub_co_u32 v7, vcc_lo, v5, v7
	v_add3_u32 v8, v8, v11, v10
	v_sub_nc_u32_e32 v10, v6, v8
	v_subrev_co_ci_u32_e64 v10, s0, s25, v10, vcc_lo
	v_add_co_u32 v11, s0, v4, 2
	v_add_co_ci_u32_e64 v12, s0, 0, v9, s0
	v_sub_co_u32 v13, s0, v7, s24
	v_sub_co_ci_u32_e32 v8, vcc_lo, v6, v8, vcc_lo
	v_subrev_co_ci_u32_e64 v10, s0, 0, v10, s0
	v_cmp_le_u32_e32 vcc_lo, s24, v13
	v_cmp_eq_u32_e64 s0, s25, v8
	v_cndmask_b32_e64 v13, 0, -1, vcc_lo
	v_cmp_le_u32_e32 vcc_lo, s25, v10
	v_cndmask_b32_e64 v14, 0, -1, vcc_lo
	v_cmp_le_u32_e32 vcc_lo, s24, v7
	;; [unrolled: 2-line block ×3, first 2 shown]
	v_cndmask_b32_e64 v15, 0, -1, vcc_lo
	v_cmp_eq_u32_e32 vcc_lo, s25, v10
	v_cndmask_b32_e64 v7, v15, v7, s0
	v_cndmask_b32_e32 v10, v14, v13, vcc_lo
	v_add_co_u32 v13, vcc_lo, v4, 1
	v_add_co_ci_u32_e32 v14, vcc_lo, 0, v9, vcc_lo
	v_cmp_ne_u32_e32 vcc_lo, 0, v10
	v_cndmask_b32_e32 v8, v14, v12, vcc_lo
	v_cndmask_b32_e32 v10, v13, v11, vcc_lo
	v_cmp_ne_u32_e32 vcc_lo, 0, v7
	v_cndmask_b32_e32 v25, v9, v8, vcc_lo
	v_cndmask_b32_e32 v24, v4, v10, vcc_lo
.LBB0_4:                                ;   in Loop: Header=BB0_2 Depth=1
	s_andn2_saveexec_b32 s0, s1
	s_cbranch_execz .LBB0_6
; %bb.5:                                ;   in Loop: Header=BB0_2 Depth=1
	v_cvt_f32_u32_e32 v4, s24
	s_sub_i32 s1, 0, s24
	v_mov_b32_e32 v25, v3
	v_rcp_iflag_f32_e32 v4, v4
	v_mul_f32_e32 v4, 0x4f7ffffe, v4
	v_cvt_u32_f32_e32 v4, v4
	v_mul_lo_u32 v7, s1, v4
	v_mul_hi_u32 v7, v4, v7
	v_add_nc_u32_e32 v4, v4, v7
	v_mul_hi_u32 v4, v5, v4
	v_mul_lo_u32 v7, v4, s24
	v_add_nc_u32_e32 v8, 1, v4
	v_sub_nc_u32_e32 v7, v5, v7
	v_subrev_nc_u32_e32 v9, s24, v7
	v_cmp_le_u32_e32 vcc_lo, s24, v7
	v_cndmask_b32_e32 v7, v7, v9, vcc_lo
	v_cndmask_b32_e32 v4, v4, v8, vcc_lo
	v_cmp_le_u32_e32 vcc_lo, s24, v7
	v_add_nc_u32_e32 v8, 1, v4
	v_cndmask_b32_e32 v24, v4, v8, vcc_lo
.LBB0_6:                                ;   in Loop: Header=BB0_2 Depth=1
	s_or_b32 exec_lo, exec_lo, s0
	v_mul_lo_u32 v4, v25, s24
	v_mul_lo_u32 v9, v24, s25
	s_load_dwordx2 s[0:1], s[6:7], 0x0
	v_mad_u64_u32 v[7:8], null, v24, s24, 0
	s_load_dwordx2 s[24:25], s[2:3], 0x0
	s_add_u32 s22, s22, 1
	s_addc_u32 s23, s23, 0
	s_add_u32 s2, s2, 8
	s_addc_u32 s3, s3, 0
	s_add_u32 s6, s6, 8
	v_add3_u32 v4, v8, v9, v4
	v_sub_co_u32 v5, vcc_lo, v5, v7
	s_addc_u32 s7, s7, 0
	s_add_u32 s20, s20, 8
	v_sub_co_ci_u32_e32 v4, vcc_lo, v6, v4, vcc_lo
	s_addc_u32 s21, s21, 0
	s_waitcnt lgkmcnt(0)
	v_mul_lo_u32 v6, s0, v4
	v_mul_lo_u32 v7, s1, v5
	v_mad_u64_u32 v[1:2], null, s0, v5, v[1:2]
	v_mul_lo_u32 v4, s24, v4
	v_mul_lo_u32 v8, s25, v5
	v_mad_u64_u32 v[22:23], null, s24, v5, v[22:23]
	v_cmp_ge_u64_e64 s0, s[22:23], s[14:15]
	v_add3_u32 v2, v7, v2, v6
	v_add3_u32 v23, v8, v23, v4
	s_and_b32 vcc_lo, exec_lo, s0
	s_cbranch_vccnz .LBB0_9
; %bb.7:                                ;   in Loop: Header=BB0_2 Depth=1
	v_mov_b32_e32 v5, v24
	v_mov_b32_e32 v6, v25
	s_branch .LBB0_2
.LBB0_8:
	v_mov_b32_e32 v23, v2
	v_mov_b32_e32 v25, v6
	;; [unrolled: 1-line block ×4, first 2 shown]
.LBB0_9:
	s_load_dwordx2 s[0:1], s[4:5], 0x28
	v_mul_hi_u32 v73, 0x2aaaaab, v0
	s_lshl_b64 s[4:5], s[14:15], 3
                                        ; implicit-def: $vgpr20
                                        ; implicit-def: $vgpr29
                                        ; implicit-def: $vgpr28
                                        ; implicit-def: $vgpr26
	s_add_u32 s2, s18, s4
	s_addc_u32 s3, s19, s5
	s_waitcnt lgkmcnt(0)
	v_cmp_gt_u64_e32 vcc_lo, s[0:1], v[24:25]
	v_cmp_le_u64_e64 s0, s[0:1], v[24:25]
	s_and_saveexec_b32 s1, s0
	s_xor_b32 s0, exec_lo, s1
; %bb.10:
	v_mul_u32_u24_e32 v1, 0x60, v73
	v_mov_b32_e32 v21, 0
                                        ; implicit-def: $vgpr73
	v_sub_nc_u32_e32 v20, v0, v1
	v_mov_b32_e32 v30, v21
                                        ; implicit-def: $vgpr0
                                        ; implicit-def: $vgpr1_vgpr2
	v_or_b32_e32 v29, 0x180, v20
	v_or_b32_e32 v28, 0x300, v20
	;; [unrolled: 1-line block ×3, first 2 shown]
; %bb.11:
	s_or_saveexec_b32 s1, s0
                                        ; implicit-def: $vgpr70
                                        ; implicit-def: $vgpr37
                                        ; implicit-def: $vgpr45
                                        ; implicit-def: $vgpr38
                                        ; implicit-def: $vgpr62
                                        ; implicit-def: $vgpr59
                                        ; implicit-def: $vgpr54
                                        ; implicit-def: $vgpr39
                                        ; implicit-def: $vgpr60
                                        ; implicit-def: $vgpr56
                                        ; implicit-def: $vgpr55
                                        ; implicit-def: $vgpr47
                                        ; implicit-def: $vgpr71
                                        ; implicit-def: $vgpr57
                                        ; implicit-def: $vgpr53
                                        ; implicit-def: $vgpr42
                                        ; implicit-def: $vgpr72
                                        ; implicit-def: $vgpr58
                                        ; implicit-def: $vgpr52
                                        ; implicit-def: $vgpr44
                                        ; implicit-def: $vgpr35
                                        ; implicit-def: $vgpr15
                                        ; implicit-def: $vgpr36
                                        ; implicit-def: $vgpr16
                                        ; implicit-def: $vgpr64
                                        ; implicit-def: $vgpr61
                                        ; implicit-def: $vgpr51
                                        ; implicit-def: $vgpr41
                                        ; implicit-def: $vgpr65
                                        ; implicit-def: $vgpr63
                                        ; implicit-def: $vgpr49
                                        ; implicit-def: $vgpr40
                                        ; implicit-def: $vgpr66
                                        ; implicit-def: $vgpr67
                                        ; implicit-def: $vgpr50
                                        ; implicit-def: $vgpr48
                                        ; implicit-def: $vgpr68
                                        ; implicit-def: $vgpr69
                                        ; implicit-def: $vgpr46
                                        ; implicit-def: $vgpr43
                                        ; implicit-def: $vgpr5
                                        ; implicit-def: $vgpr3
                                        ; implicit-def: $vgpr6
                                        ; implicit-def: $vgpr4
                                        ; implicit-def: $vgpr27
                                        ; implicit-def: $vgpr17
                                        ; implicit-def: $vgpr13
                                        ; implicit-def: $vgpr8
                                        ; implicit-def: $vgpr32
                                        ; implicit-def: $vgpr19
                                        ; implicit-def: $vgpr14
                                        ; implicit-def: $vgpr7
                                        ; implicit-def: $vgpr31
                                        ; implicit-def: $vgpr18
                                        ; implicit-def: $vgpr11
                                        ; implicit-def: $vgpr9
                                        ; implicit-def: $vgpr33
                                        ; implicit-def: $vgpr34
                                        ; implicit-def: $vgpr12
                                        ; implicit-def: $vgpr10
	s_xor_b32 exec_lo, exec_lo, s1
	s_cbranch_execz .LBB0_13
; %bb.12:
	s_add_u32 s4, s16, s4
	s_addc_u32 s5, s17, s5
	v_mul_u32_u24_e32 v7, 0x60, v73
	s_load_dwordx2 s[4:5], s[4:5], 0x0
	v_sub_nc_u32_e32 v20, v0, v7
	v_lshlrev_b64 v[0:1], 2, v[1:2]
	v_or_b32_e32 v26, 0x480, v20
	v_lshlrev_b32_e32 v8, 2, v20
	v_or_b32_e32 v28, 0x300, v20
	v_lshlrev_b32_e32 v2, 2, v26
	;; [unrolled: 2-line block ×3, first 2 shown]
	s_waitcnt lgkmcnt(0)
	v_mul_lo_u32 v5, s5, v24
	v_mul_lo_u32 v6, s4, v25
	v_mad_u64_u32 v[3:4], null, s4, v24, 0
	v_add3_u32 v4, v4, v6, v5
	v_or_b32_e32 v5, 0x2400, v8
	v_or_b32_e32 v6, 0x1800, v8
	v_lshlrev_b64 v[3:4], 2, v[3:4]
	v_add_co_u32 v3, s0, s8, v3
	v_add_co_ci_u32_e64 v4, s0, s9, v4, s0
	v_add_co_u32 v19, s0, v3, v0
	v_add_co_ci_u32_e64 v21, s0, v4, v1, s0
	;; [unrolled: 2-line block ×6, first 2 shown]
	global_load_dword v56, v[2:3], off
	v_add_co_u32 v2, s0, 0x1000, v0
	v_add_co_ci_u32_e64 v3, s0, 0, v1, s0
	v_add_co_u32 v11, s0, 0x1800, v0
	v_add_co_ci_u32_e64 v12, s0, 0, v1, s0
	;; [unrolled: 2-line block ×3, first 2 shown]
	s_clause 0x8
	global_load_dword v37, v[0:1], off
	global_load_dword v15, v[0:1], off offset:384
	global_load_dword v38, v[0:1], off offset:1152
	;; [unrolled: 1-line block ×6, first 2 shown]
	global_load_dword v58, v[4:5], off
	global_load_dword v44, v[13:14], off offset:128
	v_add_co_u32 v4, s0, v19, v6
	v_add_co_ci_u32_e64 v5, s0, 0, v21, s0
	v_add_co_u32 v6, s0, v19, v7
	v_or_b32_e32 v8, 0x1e00, v8
	v_add_co_ci_u32_e64 v7, s0, 0, v21, s0
	v_add_co_u32 v17, s0, v19, v17
	v_add_co_ci_u32_e64 v18, s0, 0, v21, s0
	v_add_co_u32 v29, s0, v19, v8
	v_add_co_ci_u32_e64 v30, s0, 0, v21, s0
	s_clause 0x5
	global_load_dword v59, v[9:10], off offset:256
	global_load_dword v61, v[9:10], off offset:640
	global_load_dword v40, v[4:5], off
	global_load_dword v43, v[6:7], off
	global_load_dword v17, v[17:18], off
	global_load_dword v18, v[29:30], off
	v_add_co_u32 v5, s0, 0x2000, v0
	v_add_co_ci_u32_e64 v6, s0, 0, v1, s0
	s_clause 0xd
	global_load_dword v47, v[2:3], off offset:1664
	global_load_dword v7, v[11:12], off offset:384
	;; [unrolled: 1-line block ×14, first 2 shown]
	v_mov_b32_e32 v21, 0
	v_or_b32_e32 v29, 0x180, v20
	v_mov_b32_e32 v30, v21
	s_waitcnt vmcnt(29)
	v_lshrrev_b32_e32 v60, 16, v56
	s_waitcnt vmcnt(28)
	v_lshrrev_b32_e32 v70, 16, v37
	;; [unrolled: 2-line block ×13, first 2 shown]
	v_lshrrev_b32_e32 v62, 16, v59
	v_lshrrev_b32_e32 v64, 16, v61
	;; [unrolled: 1-line block ×6, first 2 shown]
	s_waitcnt vmcnt(8)
	v_lshrrev_b32_e32 v51, 16, v41
	v_lshrrev_b32_e32 v65, 16, v63
	s_waitcnt vmcnt(5)
	v_lshrrev_b32_e32 v66, 16, v67
	v_lshrrev_b32_e32 v50, 16, v48
	s_waitcnt vmcnt(4)
	v_lshrrev_b32_e32 v68, 16, v69
	s_waitcnt vmcnt(2)
	v_lshrrev_b32_e32 v5, 16, v3
	v_lshrrev_b32_e32 v6, 16, v4
	;; [unrolled: 1-line block ×3, first 2 shown]
	s_waitcnt vmcnt(0)
	v_lshrrev_b32_e32 v11, 16, v9
	v_lshrrev_b32_e32 v33, 16, v34
	;; [unrolled: 1-line block ×3, first 2 shown]
.LBB0_13:
	s_or_b32 exec_lo, exec_lo, s1
	v_add_f16_e32 v1, v56, v57
	v_add_f16_e32 v0, v37, v59
	v_sub_f16_e32 v2, v62, v72
	v_add_f16_e32 v75, v59, v58
	v_sub_f16_e32 v73, v60, v71
	v_fma_f16 v1, -0.5, v1, v37
	v_add_f16_e32 v0, v0, v56
	v_sub_f16_e32 v74, v59, v56
	v_sub_f16_e32 v76, v58, v57
	v_fmac_f16_e32 v37, -0.5, v75
	v_fmamk_f16 v77, v2, 0xbb9c, v1
	v_fmac_f16_e32 v1, 0x3b9c, v2
	v_add_f16_e32 v0, v0, v57
	v_add_f16_e32 v74, v74, v76
	v_fmamk_f16 v75, v73, 0x3b9c, v37
	v_fmac_f16_e32 v77, 0xb8b4, v73
	v_fmac_f16_e32 v1, 0x38b4, v73
	v_sub_f16_e32 v76, v56, v59
	v_fmac_f16_e32 v37, 0xbb9c, v73
	v_sub_f16_e32 v73, v57, v58
	v_add_f16_e32 v78, v60, v71
	v_add_f16_e32 v0, v0, v58
	v_fmac_f16_e32 v77, 0x34f2, v74
	v_fmac_f16_e32 v1, 0x34f2, v74
	v_add_f16_e32 v73, v76, v73
	v_add_f16_e32 v74, v70, v62
	v_fma_f16 v76, -0.5, v78, v70
	v_sub_f16_e32 v58, v59, v58
	v_fmac_f16_e32 v75, 0xb8b4, v2
	v_sub_f16_e32 v59, v62, v60
	v_sub_f16_e32 v78, v72, v71
	v_add_f16_e32 v74, v74, v60
	v_sub_f16_e32 v56, v56, v57
	v_fmamk_f16 v79, v58, 0x3b9c, v76
	v_fmac_f16_e32 v37, 0x38b4, v2
	v_add_f16_e32 v2, v62, v72
	v_fmac_f16_e32 v76, 0xbb9c, v58
	v_add_f16_e32 v57, v59, v78
	v_add_f16_e32 v59, v74, v71
	v_fmac_f16_e32 v79, 0x38b4, v56
	v_fmac_f16_e32 v70, -0.5, v2
	v_fmac_f16_e32 v76, 0xb8b4, v56
	v_fmac_f16_e32 v75, 0x34f2, v73
	v_fmac_f16_e32 v37, 0x34f2, v73
	v_add_f16_e32 v2, v59, v72
	v_fmac_f16_e32 v79, 0x34f2, v57
	v_fmamk_f16 v73, v56, 0xbb9c, v70
	v_sub_f16_e32 v59, v60, v62
	v_sub_f16_e32 v60, v71, v72
	v_fmac_f16_e32 v70, 0x3b9c, v56
	v_add_f16_e32 v62, v38, v39
	v_fmac_f16_e32 v76, 0x34f2, v57
	v_add_f16_e32 v57, v47, v42
	;; [unrolled: 2-line block ×4, first 2 shown]
	v_fma_f16 v57, -0.5, v57, v38
	v_sub_f16_e32 v59, v54, v52
	v_fmac_f16_e32 v73, 0x34f2, v56
	v_fmac_f16_e32 v70, 0x34f2, v56
	v_add_f16_e32 v56, v58, v42
	v_add_f16_e32 v58, v39, v44
	v_sub_f16_e32 v60, v39, v47
	v_sub_f16_e32 v62, v44, v42
	;; [unrolled: 1-line block ×3, first 2 shown]
	v_fmamk_f16 v74, v59, 0xbb9c, v57
	v_fmac_f16_e32 v57, 0x3b9c, v59
	v_fmac_f16_e32 v38, -0.5, v58
	v_sub_f16_e32 v58, v47, v39
	v_sub_f16_e32 v72, v42, v44
	v_add_f16_e32 v60, v60, v62
	v_fmac_f16_e32 v74, 0xb8b4, v71
	v_fmac_f16_e32 v57, 0x38b4, v71
	v_fmamk_f16 v62, v71, 0x3b9c, v38
	v_add_f16_e32 v58, v58, v72
	v_add_f16_e32 v72, v56, v44
	v_fmac_f16_e32 v38, 0xbb9c, v71
	v_fmac_f16_e32 v74, 0x34f2, v60
	;; [unrolled: 1-line block ×3, first 2 shown]
	v_add_f16_e32 v56, v55, v53
	v_add_f16_e32 v60, v54, v52
	v_fmac_f16_e32 v62, 0xb8b4, v59
	v_fmac_f16_e32 v38, 0x38b4, v59
	v_add_f16_e32 v59, v45, v54
	v_fma_f16 v71, -0.5, v56, v45
	v_sub_f16_e32 v42, v47, v42
	v_fmac_f16_e32 v45, -0.5, v60
	v_sub_f16_e32 v39, v39, v44
	v_add_f16_e32 v44, v59, v55
	v_sub_f16_e32 v56, v54, v55
	v_sub_f16_e32 v54, v55, v54
	v_fmamk_f16 v59, v42, 0xbb9c, v45
	v_sub_f16_e32 v55, v53, v52
	v_fmac_f16_e32 v45, 0x3b9c, v42
	v_fmac_f16_e32 v62, 0x34f2, v58
	;; [unrolled: 1-line block ×3, first 2 shown]
	v_fmamk_f16 v47, v39, 0x3b9c, v71
	v_sub_f16_e32 v58, v52, v53
	v_add_f16_e32 v54, v54, v55
	v_fmac_f16_e32 v45, 0xb8b4, v39
	v_fmac_f16_e32 v71, 0xbb9c, v39
	;; [unrolled: 1-line block ×3, first 2 shown]
	v_add_f16_e32 v56, v56, v58
	v_fmac_f16_e32 v59, 0x38b4, v39
	v_fmac_f16_e32 v45, 0x34f2, v54
	;; [unrolled: 1-line block ×3, first 2 shown]
	v_mul_f16_e32 v82, 0x3b9c, v62
	v_fmac_f16_e32 v47, 0x34f2, v56
	v_fmac_f16_e32 v59, 0x34f2, v54
	v_mul_f16_e32 v78, 0xbb9c, v45
	v_fmac_f16_e32 v71, 0x34f2, v56
	v_add_f16_e32 v39, v44, v53
	v_mul_f16_e32 v58, 0xb8b4, v47
	v_mul_f16_e32 v81, 0x3a79, v47
	v_fmac_f16_e32 v78, 0xb4f2, v38
	v_mul_f16_e32 v60, 0xbb9c, v59
	v_mul_f16_e32 v80, 0xb8b4, v71
	v_fmac_f16_e32 v58, 0x3a79, v74
	v_fmac_f16_e32 v81, 0x38b4, v74
	v_add_f16_e32 v55, v37, v78
	v_mul_f16_e32 v74, 0xb4f2, v45
	v_mul_f16_e32 v71, 0xba79, v71
	v_fmac_f16_e32 v82, 0x34f2, v59
	v_sub_f16_e32 v59, v37, v78
	v_add_f16_e32 v37, v15, v61
	v_add_f16_e32 v39, v39, v52
	;; [unrolled: 1-line block ×3, first 2 shown]
	v_fmac_f16_e32 v60, 0x34f2, v62
	v_fmac_f16_e32 v80, 0xba79, v57
	;; [unrolled: 1-line block ×4, first 2 shown]
	v_sub_f16_e32 v57, v0, v72
	v_add_f16_e32 v38, v63, v67
	v_add_f16_e32 v72, v37, v63
	;; [unrolled: 1-line block ×5, first 2 shown]
	v_sub_f16_e32 v58, v77, v58
	v_sub_f16_e32 v60, v75, v60
	v_fma_f16 v75, -0.5, v38, v15
	v_sub_f16_e32 v77, v64, v68
	v_sub_f16_e32 v37, v70, v74
	v_add_f16_e32 v70, v72, v67
	v_add_f16_e32 v72, v61, v69
	;; [unrolled: 1-line block ×6, first 2 shown]
	v_sub_f16_e32 v62, v1, v80
	v_sub_f16_e32 v1, v2, v39
	;; [unrolled: 1-line block ×4, first 2 shown]
	v_fmamk_f16 v71, v77, 0xbb9c, v75
	v_sub_f16_e32 v73, v65, v66
	v_sub_f16_e32 v74, v61, v63
	;; [unrolled: 1-line block ×3, first 2 shown]
	v_fmac_f16_e32 v75, 0x3b9c, v77
	v_fmac_f16_e32 v15, -0.5, v72
	v_fmac_f16_e32 v71, 0xb8b4, v73
	v_add_f16_e32 v78, v65, v66
	v_add_f16_e32 v72, v74, v76
	v_fmac_f16_e32 v75, 0x38b4, v73
	v_fmamk_f16 v74, v73, 0x3b9c, v15
	v_sub_f16_e32 v76, v63, v61
	v_fmac_f16_e32 v15, 0xbb9c, v73
	v_sub_f16_e32 v73, v67, v69
	v_fmac_f16_e32 v71, 0x34f2, v72
	v_fmac_f16_e32 v75, 0x34f2, v72
	;; [unrolled: 1-line block ×3, first 2 shown]
	v_sub_f16_e32 v61, v61, v69
	v_add_f16_e32 v72, v76, v73
	v_add_f16_e32 v73, v35, v64
	v_fma_f16 v76, -0.5, v78, v35
	v_fmac_f16_e32 v15, 0x38b4, v77
	v_add_f16_e32 v77, v64, v68
	v_add_f16_e32 v70, v70, v69
	v_add_f16_e32 v73, v73, v65
	v_sub_f16_e32 v69, v64, v65
	v_sub_f16_e32 v63, v63, v67
	v_fmamk_f16 v67, v61, 0x3b9c, v76
	v_fmac_f16_e32 v35, -0.5, v77
	v_add_f16_e32 v73, v73, v66
	v_fmac_f16_e32 v76, 0xbb9c, v61
	v_sub_f16_e32 v64, v65, v64
	v_sub_f16_e32 v65, v66, v68
	;; [unrolled: 1-line block ×3, first 2 shown]
	v_fmac_f16_e32 v67, 0x38b4, v63
	v_fmac_f16_e32 v74, 0x34f2, v72
	;; [unrolled: 1-line block ×3, first 2 shown]
	v_add_f16_e32 v72, v73, v68
	v_fmamk_f16 v73, v63, 0xbb9c, v35
	v_fmac_f16_e32 v35, 0x3b9c, v63
	v_fmac_f16_e32 v76, 0xb8b4, v63
	v_add_f16_e32 v63, v64, v65
	v_add_f16_e32 v64, v40, v48
	;; [unrolled: 1-line block ×4, first 2 shown]
	v_fmac_f16_e32 v73, 0x38b4, v61
	v_fmac_f16_e32 v35, 0xb8b4, v61
	v_fma_f16 v64, -0.5, v64, v16
	v_sub_f16_e32 v65, v51, v46
	v_fmac_f16_e32 v67, 0x34f2, v69
	v_add_f16_e32 v61, v66, v40
	v_fmac_f16_e32 v76, 0x34f2, v69
	v_fmac_f16_e32 v73, 0x34f2, v63
	;; [unrolled: 1-line block ×3, first 2 shown]
	v_add_f16_e32 v63, v41, v43
	v_sub_f16_e32 v66, v41, v40
	v_sub_f16_e32 v68, v43, v48
	;; [unrolled: 1-line block ×3, first 2 shown]
	v_fmamk_f16 v78, v65, 0xbb9c, v64
	v_fmac_f16_e32 v64, 0x3b9c, v65
	v_fmac_f16_e32 v16, -0.5, v63
	v_add_f16_e32 v66, v66, v68
	v_sub_f16_e32 v63, v40, v41
	v_fmac_f16_e32 v78, 0xb8b4, v69
	v_fmac_f16_e32 v64, 0x38b4, v69
	v_sub_f16_e32 v77, v48, v43
	v_fmamk_f16 v68, v69, 0x3b9c, v16
	v_fmac_f16_e32 v16, 0xbb9c, v69
	v_fmac_f16_e32 v78, 0x34f2, v66
	;; [unrolled: 1-line block ×3, first 2 shown]
	v_add_f16_e32 v66, v49, v50
	v_add_f16_e32 v69, v51, v46
	;; [unrolled: 1-line block ×4, first 2 shown]
	v_fmac_f16_e32 v68, 0xb8b4, v65
	v_fmac_f16_e32 v16, 0x38b4, v65
	v_add_f16_e32 v65, v36, v51
	v_fma_f16 v66, -0.5, v66, v36
	v_sub_f16_e32 v40, v40, v48
	v_fmac_f16_e32 v36, -0.5, v69
	v_add_f16_e32 v61, v61, v43
	v_fmac_f16_e32 v68, 0x34f2, v63
	v_sub_f16_e32 v41, v41, v43
	v_fmac_f16_e32 v16, 0x34f2, v63
	v_add_f16_e32 v43, v65, v49
	v_sub_f16_e32 v63, v51, v49
	v_fmamk_f16 v69, v40, 0xbb9c, v36
	v_sub_f16_e32 v49, v49, v51
	v_sub_f16_e32 v51, v50, v46
	v_fmac_f16_e32 v36, 0x3b9c, v40
	v_fmamk_f16 v48, v41, 0x3b9c, v66
	v_sub_f16_e32 v65, v46, v50
	v_fmac_f16_e32 v66, 0xbb9c, v41
	v_add_f16_e32 v49, v49, v51
	v_fmac_f16_e32 v36, 0xb8b4, v41
	v_fmac_f16_e32 v69, 0x38b4, v41
	v_add_f16_e32 v63, v63, v65
	v_add_f16_e32 v41, v43, v50
	v_fmac_f16_e32 v66, 0xb8b4, v40
	v_fmac_f16_e32 v36, 0x34f2, v49
	;; [unrolled: 1-line block ×4, first 2 shown]
	v_add_f16_e32 v41, v41, v46
	v_fmac_f16_e32 v66, 0x34f2, v63
	v_mul_f16_e32 v46, 0xbb9c, v36
	v_fmac_f16_e32 v48, 0x34f2, v63
	v_mul_f16_e32 v43, 0xbb9c, v69
	v_mul_f16_e32 v36, 0xb4f2, v36
	;; [unrolled: 1-line block ×3, first 2 shown]
	v_fmac_f16_e32 v46, 0xb4f2, v16
	v_mul_f16_e32 v66, 0xba79, v66
	v_mul_f16_e32 v40, 0xb8b4, v48
	v_fmac_f16_e32 v43, 0x34f2, v68
	v_mul_f16_e32 v48, 0x3a79, v48
	v_fmac_f16_e32 v50, 0xba79, v64
	v_add_f16_e32 v65, v15, v46
	v_mul_f16_e32 v68, 0x3b9c, v68
	v_fmac_f16_e32 v66, 0x38b4, v64
	v_sub_f16_e32 v15, v15, v46
	v_add_f16_e32 v46, v3, v17
	v_add_f16_e32 v64, v19, v18
	;; [unrolled: 1-line block ×3, first 2 shown]
	v_sub_f16_e32 v2, v79, v81
	v_fmac_f16_e32 v40, 0x3a79, v78
	v_fmac_f16_e32 v48, 0x38b4, v78
	;; [unrolled: 1-line block ×3, first 2 shown]
	v_add_f16_e32 v78, v72, v41
	v_fmac_f16_e32 v36, 0x3b9c, v16
	v_add_f16_e32 v81, v76, v66
	v_sub_f16_e32 v82, v72, v41
	v_add_f16_e32 v41, v46, v19
	v_fma_f16 v46, -0.5, v64, v3
	v_sub_f16_e32 v64, v27, v33
	v_sub_f16_e32 v84, v76, v66
	v_add_f16_e32 v66, v17, v34
	v_add_f16_e32 v16, v67, v48
	;; [unrolled: 1-line block ×4, first 2 shown]
	v_sub_f16_e32 v48, v67, v48
	v_sub_f16_e32 v83, v73, v68
	;; [unrolled: 1-line block ×3, first 2 shown]
	v_add_f16_e32 v35, v41, v18
	v_fmamk_f16 v41, v64, 0xbb9c, v46
	v_sub_f16_e32 v67, v32, v31
	v_sub_f16_e32 v68, v17, v19
	;; [unrolled: 1-line block ×3, first 2 shown]
	v_fmac_f16_e32 v46, 0x3b9c, v64
	v_fmac_f16_e32 v3, -0.5, v66
	v_fmac_f16_e32 v41, 0xb8b4, v67
	v_add_f16_e32 v49, v70, v61
	v_add_f16_e32 v66, v68, v69
	v_fmac_f16_e32 v46, 0x38b4, v67
	v_fmamk_f16 v68, v67, 0x3b9c, v3
	v_sub_f16_e32 v69, v19, v17
	v_fmac_f16_e32 v3, 0xbb9c, v67
	v_sub_f16_e32 v67, v18, v34
	v_sub_f16_e32 v61, v70, v61
	v_fmac_f16_e32 v41, 0x34f2, v66
	v_add_f16_e32 v70, v32, v31
	v_fmac_f16_e32 v46, 0x34f2, v66
	v_add_f16_e32 v66, v69, v67
	v_add_f16_e32 v67, v5, v27
	v_fmac_f16_e32 v68, 0xb8b4, v64
	v_fma_f16 v69, -0.5, v70, v5
	v_sub_f16_e32 v17, v17, v34
	v_fmac_f16_e32 v3, 0x38b4, v64
	v_add_f16_e32 v67, v67, v32
	v_add_f16_e32 v64, v27, v33
	;; [unrolled: 1-line block ×3, first 2 shown]
	v_sub_f16_e32 v34, v27, v32
	v_sub_f16_e32 v70, v33, v31
	;; [unrolled: 1-line block ×3, first 2 shown]
	v_fmamk_f16 v19, v17, 0x3b9c, v69
	v_add_f16_e32 v67, v67, v31
	v_fmac_f16_e32 v5, -0.5, v64
	v_fmac_f16_e32 v69, 0xbb9c, v17
	v_sub_f16_e32 v27, v32, v27
	v_sub_f16_e32 v31, v31, v33
	v_fmac_f16_e32 v19, 0x38b4, v18
	v_fmac_f16_e32 v68, 0x34f2, v66
	;; [unrolled: 1-line block ×3, first 2 shown]
	v_fmamk_f16 v66, v18, 0xbb9c, v5
	v_fmac_f16_e32 v5, 0x3b9c, v18
	v_add_f16_e32 v32, v4, v8
	v_fmac_f16_e32 v69, 0xb8b4, v18
	v_add_f16_e32 v18, v27, v31
	v_add_f16_e32 v27, v7, v9
	;; [unrolled: 1-line block ×3, first 2 shown]
	v_fmac_f16_e32 v66, 0x38b4, v17
	v_fmac_f16_e32 v5, 0xb8b4, v17
	v_add_f16_e32 v17, v32, v7
	v_fma_f16 v27, -0.5, v27, v4
	v_sub_f16_e32 v31, v13, v12
	v_sub_f16_e32 v32, v8, v7
	;; [unrolled: 1-line block ×3, first 2 shown]
	v_add_f16_e32 v34, v34, v70
	v_fmac_f16_e32 v66, 0x34f2, v18
	v_fmac_f16_e32 v5, 0x34f2, v18
	v_add_f16_e32 v18, v8, v10
	v_sub_f16_e32 v67, v14, v11
	v_add_f16_e32 v32, v32, v33
	v_fmamk_f16 v33, v31, 0xbb9c, v27
	v_fmac_f16_e32 v27, 0x3b9c, v31
	v_fmac_f16_e32 v19, 0x34f2, v34
	;; [unrolled: 1-line block ×3, first 2 shown]
	v_fmac_f16_e32 v4, -0.5, v18
	v_sub_f16_e32 v18, v7, v8
	v_sub_f16_e32 v34, v9, v10
	v_fmac_f16_e32 v33, 0xb8b4, v67
	v_fmac_f16_e32 v27, 0x38b4, v67
	v_add_f16_e32 v17, v17, v9
	v_sub_f16_e32 v8, v8, v10
	v_add_f16_e32 v18, v18, v34
	v_fmamk_f16 v34, v67, 0x3b9c, v4
	v_fmac_f16_e32 v4, 0xbb9c, v67
	v_fmac_f16_e32 v33, 0x34f2, v32
	;; [unrolled: 1-line block ×3, first 2 shown]
	v_add_f16_e32 v32, v14, v11
	v_add_f16_e32 v67, v13, v12
	v_fmac_f16_e32 v34, 0xb8b4, v31
	v_fmac_f16_e32 v4, 0x38b4, v31
	v_add_f16_e32 v31, v6, v13
	v_fma_f16 v32, -0.5, v32, v6
	v_sub_f16_e32 v7, v7, v9
	v_fmac_f16_e32 v6, -0.5, v67
	v_add_f16_e32 v17, v17, v10
	v_fmac_f16_e32 v34, 0x34f2, v18
	v_fmac_f16_e32 v4, 0x34f2, v18
	v_add_f16_e32 v9, v31, v14
	v_fmamk_f16 v10, v8, 0x3b9c, v32
	v_sub_f16_e32 v18, v13, v14
	v_sub_f16_e32 v31, v12, v11
	v_fmamk_f16 v67, v7, 0xbb9c, v6
	v_sub_f16_e32 v13, v14, v13
	v_sub_f16_e32 v14, v11, v12
	v_fmac_f16_e32 v6, 0x3b9c, v7
	v_fmac_f16_e32 v32, 0xbb9c, v8
	v_add_f16_e32 v18, v18, v31
	v_fmac_f16_e32 v67, 0x38b4, v8
	v_add_f16_e32 v13, v13, v14
	v_fmac_f16_e32 v6, 0xb8b4, v8
	v_fmac_f16_e32 v32, 0xb8b4, v7
	;; [unrolled: 1-line block ×3, first 2 shown]
	v_add_f16_e32 v8, v9, v11
	v_fmac_f16_e32 v67, 0x34f2, v13
	v_fmac_f16_e32 v6, 0x34f2, v13
	v_fmac_f16_e32 v32, 0x34f2, v18
	v_fmac_f16_e32 v10, 0x34f2, v18
	v_add_f16_e32 v51, v71, v40
	v_mul_f16_e32 v9, 0xbb9c, v67
	v_mul_f16_e32 v11, 0xbb9c, v6
	;; [unrolled: 1-line block ×6, first 2 shown]
	v_fmac_f16_e32 v11, 0xb4f2, v4
	v_fmac_f16_e32 v13, 0xba79, v27
	;; [unrolled: 1-line block ×3, first 2 shown]
	v_mul_f16_e32 v34, 0x3b9c, v34
	v_fmac_f16_e32 v7, 0x3a79, v33
	v_add_f16_e32 v31, v3, v11
	v_fmac_f16_e32 v10, 0x38b4, v33
	v_add_f16_e32 v33, v46, v13
	v_fmac_f16_e32 v6, 0x3b9c, v4
	v_sub_f16_e32 v3, v3, v11
	v_sub_f16_e32 v11, v46, v13
	v_mul_u32_u24_e32 v13, 10, v20
	v_mul_f16_e32 v32, 0xba79, v32
	v_fmac_f16_e32 v34, 0x34f2, v67
	v_add_f16_e32 v63, v74, v43
	v_add_f16_e32 v86, v5, v6
	v_sub_f16_e32 v5, v5, v6
	v_lshl_add_u32 v6, v13, 1, 0
	v_add_f16_e32 v77, v75, v50
	v_sub_f16_e32 v40, v71, v40
	v_sub_f16_e32 v43, v74, v43
	;; [unrolled: 1-line block ×3, first 2 shown]
	v_add_f16_e32 v4, v19, v10
	v_fmac_f16_e32 v32, 0x38b4, v27
	v_add_f16_e32 v27, v66, v34
	v_sub_f16_e32 v10, v19, v10
	v_sub_f16_e32 v19, v66, v34
	v_pack_b32_f16 v13, v54, v55
	v_pack_b32_f16 v34, v52, v53
	v_add_f16_e32 v8, v8, v12
	v_add_f16_e32 v12, v35, v17
	;; [unrolled: 1-line block ×4, first 2 shown]
	v_sub_f16_e32 v17, v35, v17
	v_sub_f16_e32 v7, v41, v7
	v_pack_b32_f16 v35, v58, v60
	v_pack_b32_f16 v41, v56, v57
	v_sub_f16_e32 v9, v68, v9
	v_pack_b32_f16 v46, v59, v62
	v_add_nc_u32_e32 v88, 0x780, v6
	v_pack_b32_f16 v52, v63, v65
	v_pack_b32_f16 v49, v49, v51
	s_load_dwordx2 s[2:3], s[2:3], 0x0
	v_add_f16_e32 v87, v69, v32
	v_sub_f16_e32 v51, v69, v32
	ds_write2_b32 v6, v34, v13 offset1:1
	ds_write2_b32 v6, v41, v35 offset0:2 offset1:3
	ds_write_b32 v6, v46 offset:16
	ds_write2_b32 v88, v49, v52 offset1:1
	v_add_nc_u32_e32 v13, 0x788, v6
	v_pack_b32_f16 v32, v40, v43
	v_pack_b32_f16 v34, v77, v61
	;; [unrolled: 1-line block ×4, first 2 shown]
	v_add_nc_u32_e32 v49, 0xf00, v6
	v_pack_b32_f16 v18, v18, v31
	v_pack_b32_f16 v12, v12, v14
	v_add_nc_u32_e32 v14, 0xf08, v6
	v_pack_b32_f16 v7, v7, v9
	v_pack_b32_f16 v9, v33, v17
	ds_write2_b32 v13, v34, v32 offset1:1
	ds_write_b32 v6, v15 offset:1936
	ds_write2_b32 v49, v12, v18 offset1:1
	ds_write2_b32 v14, v9, v7 offset1:1
	v_mad_i32_i24 v33, 0xffffffee, v20, v6
	ds_write_b32 v6, v3 offset:3856
	v_pack_b32_f16 v3, v45, v47
	v_pack_b32_f16 v7, v42, v44
	v_and_b32_e32 v9, 0xff, v20
	v_add_f16_e32 v85, v64, v8
	v_sub_f16_e32 v8, v64, v8
	s_waitcnt lgkmcnt(0)
	s_barrier
	buffer_gl0_inv
	ds_read_u16 v46, v33
	ds_read_u16 v43, v33 offset:192
	ds_read_u16 v41, v33 offset:384
	;; [unrolled: 1-line block ×15, first 2 shown]
	v_lshl_add_u32 v34, v29, 1, 0
	ds_read_u16 v70, v33 offset:3072
	ds_read_u16 v74, v33 offset:2880
	ds_read_u16 v58, v33 offset:2688
	ds_read_u16 v71, v33 offset:2112
	ds_read_u16 v76, v33 offset:1920
	ds_read_u16 v63, v33 offset:1728
	ds_read_u16 v68, v33 offset:4224
	ds_read_u16 v65, v33 offset:4416
	ds_read_u16 v57, v33 offset:4608
	ds_read_u16 v72, v33 offset:4032
	ds_read_u16 v75, v33 offset:3840
	ds_read_u16 v62, v33 offset:3648
	ds_read_u16 v31, v34
	ds_read_u16 v56, v33 offset:5568
	s_waitcnt lgkmcnt(0)
	s_barrier
	buffer_gl0_inv
	ds_write2_b32 v6, v7, v3 offset1:1
	v_mul_lo_u16 v3, 0xcd, v9
	v_pack_b32_f16 v2, v2, v38
	v_pack_b32_f16 v0, v0, v1
	;; [unrolled: 1-line block ×3, first 2 shown]
	v_add_nc_u16 v37, v20, 0x60
	v_lshrrev_b16 v32, 11, v3
	v_pack_b32_f16 v7, v79, v80
	v_pack_b32_f16 v3, v78, v16
	ds_write2_b32 v6, v0, v2 offset0:2 offset1:3
	v_pack_b32_f16 v9, v48, v83
	v_mul_lo_u16 v0, v32, 10
	v_pack_b32_f16 v11, v81, v82
	ds_write_b32 v6, v1 offset:16
	ds_write2_b32 v88, v3, v7 offset1:1
	ds_write2_b32 v13, v11, v9 offset1:1
	v_pack_b32_f16 v1, v36, v84
	v_and_b32_e32 v39, 0xff, v37
	v_sub_nc_u16 v40, v20, v0
	v_pack_b32_f16 v0, v27, v86
	v_pack_b32_f16 v2, v85, v4
	;; [unrolled: 1-line block ×4, first 2 shown]
	ds_write_b32 v6, v1 offset:1936
	ds_write2_b32 v49, v2, v0 offset1:1
	ds_write2_b32 v14, v4, v3 offset1:1
	v_mul_lo_u16 v4, 0xcd, v39
	v_pack_b32_f16 v5, v5, v51
	v_mov_b32_e32 v36, 5
	v_add_nc_u32_e32 v38, 0xc0, v20
	v_add_nc_u32_e32 v27, 0x120, v20
	v_lshrrev_b16 v42, 11, v4
	ds_write_b32 v6, v5 offset:3856
	v_mov_b32_e32 v5, 0xcccd
	v_mul_u32_u24_sdwa v7, v40, v36 dst_sel:DWORD dst_unused:UNUSED_PAD src0_sel:BYTE_0 src1_sel:DWORD
	s_waitcnt lgkmcnt(0)
	v_mul_lo_u16 v4, v42, 10
	s_barrier
	buffer_gl0_inv
	v_lshlrev_b32_e32 v77, 2, v7
	v_cmp_gt_u32_e64 s0, 60, v20
	v_sub_nc_u16 v45, v37, v4
	v_mul_u32_u24_sdwa v4, v38, v5 dst_sel:DWORD dst_unused:UNUSED_PAD src0_sel:WORD_0 src1_sel:DWORD
	global_load_dwordx4 v[0:3], v77, s[12:13]
	v_mul_u32_u24_sdwa v6, v45, v36 dst_sel:DWORD dst_unused:UNUSED_PAD src0_sel:BYTE_0 src1_sel:DWORD
	v_lshrrev_b32_e32 v44, 19, v4
	v_lshlrev_b32_e32 v78, 2, v6
	v_mul_lo_u16 v4, v44, 10
	global_load_dwordx4 v[12:15], v78, s[12:13]
	v_sub_nc_u16 v49, v38, v4
	v_mul_u32_u24_sdwa v4, v27, v5 dst_sel:DWORD dst_unused:UNUSED_PAD src0_sel:WORD_0 src1_sel:DWORD
	v_mul_u32_u24_sdwa v6, v49, v36 dst_sel:DWORD dst_unused:UNUSED_PAD src0_sel:WORD_0 src1_sel:DWORD
	v_lshrrev_b32_e32 v47, 19, v4
	v_lshlrev_b32_e32 v79, 2, v6
	v_mul_lo_u16 v4, v47, 10
	global_load_dwordx4 v[8:11], v79, s[12:13]
	v_sub_nc_u16 v48, v27, v4
	v_mul_u32_u24_sdwa v4, v29, v5 dst_sel:DWORD dst_unused:UNUSED_PAD src0_sel:WORD_0 src1_sel:DWORD
	v_mul_u32_u24_sdwa v5, v48, v36 dst_sel:DWORD dst_unused:UNUSED_PAD src0_sel:WORD_0 src1_sel:DWORD
	v_lshrrev_b32_e32 v50, 19, v4
	v_lshlrev_b32_e32 v80, 2, v5
	v_mul_lo_u16 v4, v50, 10
	global_load_dwordx4 v[16:19], v80, s[12:13]
	v_sub_nc_u16 v51, v29, v4
	v_mul_u32_u24_sdwa v4, v51, v36 dst_sel:DWORD dst_unused:UNUSED_PAD src0_sel:WORD_0 src1_sel:DWORD
	v_lshlrev_b32_e32 v81, 2, v4
	s_clause 0x5
	global_load_dwordx4 v[4:7], v81, s[12:13]
	global_load_dword v77, v77, s[12:13] offset:16
	global_load_dword v78, v78, s[12:13] offset:16
	;; [unrolled: 1-line block ×5, first 2 shown]
	ds_read_u16 v82, v33 offset:960
	ds_read_u16 v83, v33 offset:1920
	;; [unrolled: 1-line block ×14, first 2 shown]
	ds_read_u16 v100, v33
	ds_read_u16 v101, v33 offset:192
	ds_read_u16 v102, v33 offset:384
	s_waitcnt vmcnt(9) lgkmcnt(16)
	v_mul_f16_sdwa v89, v82, v0 dst_sel:DWORD dst_unused:UNUSED_PAD src0_sel:DWORD src1_sel:WORD_1
	v_mul_f16_sdwa v90, v73, v0 dst_sel:DWORD dst_unused:UNUSED_PAD src0_sel:DWORD src1_sel:WORD_1
	s_waitcnt lgkmcnt(15)
	v_mul_f16_sdwa v98, v83, v1 dst_sel:DWORD dst_unused:UNUSED_PAD src0_sel:DWORD src1_sel:WORD_1
	v_mul_f16_sdwa v99, v76, v1 dst_sel:DWORD dst_unused:UNUSED_PAD src0_sel:DWORD src1_sel:WORD_1
	s_waitcnt lgkmcnt(9)
	v_mul_f16_sdwa v106, v91, v3 dst_sel:DWORD dst_unused:UNUSED_PAD src0_sel:DWORD src1_sel:WORD_1
	v_fmac_f16_e32 v89, v73, v0
	v_fma_f16 v0, v82, v0, -v90
	v_fmac_f16_e32 v98, v76, v1
	v_fma_f16 v1, v83, v1, -v99
	ds_read_u16 v82, v33 offset:3264
	ds_read_u16 v83, v33 offset:3456
	;; [unrolled: 1-line block ×7, first 2 shown]
	v_mul_f16_sdwa v73, v84, v2 dst_sel:DWORD dst_unused:UNUSED_PAD src0_sel:DWORD src1_sel:WORD_1
	v_mul_f16_sdwa v76, v74, v2 dst_sel:DWORD dst_unused:UNUSED_PAD src0_sel:DWORD src1_sel:WORD_1
	v_fmac_f16_e32 v106, v75, v3
	v_fmac_f16_e32 v73, v74, v2
	v_mul_f16_sdwa v74, v75, v3 dst_sel:DWORD dst_unused:UNUSED_PAD src0_sel:DWORD src1_sel:WORD_1
	v_fma_f16 v2, v84, v2, -v76
	s_waitcnt vmcnt(8)
	v_mul_f16_sdwa v76, v85, v12 dst_sel:DWORD dst_unused:UNUSED_PAD src0_sel:DWORD src1_sel:WORD_1
	v_mul_f16_sdwa v75, v69, v12 dst_sel:DWORD dst_unused:UNUSED_PAD src0_sel:DWORD src1_sel:WORD_1
	ds_read_u16 v84, v33 offset:5184
	v_fma_f16 v3, v91, v3, -v74
	s_waitcnt lgkmcnt(15)
	v_mul_f16_sdwa v74, v93, v13 dst_sel:DWORD dst_unused:UNUSED_PAD src0_sel:DWORD src1_sel:WORD_1
	v_fmac_f16_e32 v76, v69, v12
	v_mul_f16_sdwa v69, v71, v13 dst_sel:DWORD dst_unused:UNUSED_PAD src0_sel:DWORD src1_sel:WORD_1
	v_fma_f16 v12, v85, v12, -v75
	v_mul_f16_sdwa v75, v92, v14 dst_sel:DWORD dst_unused:UNUSED_PAD src0_sel:DWORD src1_sel:WORD_1
	v_fmac_f16_e32 v74, v71, v13
	v_mul_f16_sdwa v71, v70, v14 dst_sel:DWORD dst_unused:UNUSED_PAD src0_sel:DWORD src1_sel:WORD_1
	v_fma_f16 v13, v93, v13, -v69
	s_waitcnt lgkmcnt(5)
	v_mul_f16_sdwa v69, v90, v15 dst_sel:DWORD dst_unused:UNUSED_PAD src0_sel:DWORD src1_sel:WORD_1
	v_fmac_f16_e32 v75, v70, v14
	v_mul_f16_sdwa v70, v72, v15 dst_sel:DWORD dst_unused:UNUSED_PAD src0_sel:DWORD src1_sel:WORD_1
	v_fma_f16 v14, v92, v14, -v71
	s_waitcnt vmcnt(7)
	v_mul_f16_sdwa v71, v86, v8 dst_sel:DWORD dst_unused:UNUSED_PAD src0_sel:DWORD src1_sel:WORD_1
	v_fmac_f16_e32 v69, v72, v15
	v_mul_f16_sdwa v72, v64, v8 dst_sel:DWORD dst_unused:UNUSED_PAD src0_sel:DWORD src1_sel:WORD_1
	v_fma_f16 v15, v90, v15, -v70
	v_mul_f16_sdwa v70, v94, v9 dst_sel:DWORD dst_unused:UNUSED_PAD src0_sel:DWORD src1_sel:WORD_1
	v_fmac_f16_e32 v71, v64, v8
	v_mul_f16_sdwa v64, v67, v9 dst_sel:DWORD dst_unused:UNUSED_PAD src0_sel:DWORD src1_sel:WORD_1
	v_fma_f16 v8, v86, v8, -v72
	;; [unrolled: 4-line block ×3, first 2 shown]
	s_waitcnt lgkmcnt(4)
	v_mul_f16_sdwa v64, v99, v11 dst_sel:DWORD dst_unused:UNUSED_PAD src0_sel:DWORD src1_sel:WORD_1
	v_fmac_f16_e32 v72, v66, v10
	v_mul_f16_sdwa v66, v68, v11 dst_sel:DWORD dst_unused:UNUSED_PAD src0_sel:DWORD src1_sel:WORD_1
	v_fma_f16 v10, v82, v10, -v67
	s_waitcnt vmcnt(6)
	v_mul_f16_sdwa v67, v87, v16 dst_sel:DWORD dst_unused:UNUSED_PAD src0_sel:DWORD src1_sel:WORD_1
	v_fmac_f16_e32 v64, v68, v11
	v_mul_f16_sdwa v68, v59, v16 dst_sel:DWORD dst_unused:UNUSED_PAD src0_sel:DWORD src1_sel:WORD_1
	v_fma_f16 v11, v99, v11, -v66
	v_mul_f16_sdwa v66, v95, v17 dst_sel:DWORD dst_unused:UNUSED_PAD src0_sel:DWORD src1_sel:WORD_1
	v_fmac_f16_e32 v67, v59, v16
	v_mul_f16_sdwa v59, v61, v17 dst_sel:DWORD dst_unused:UNUSED_PAD src0_sel:DWORD src1_sel:WORD_1
	v_fma_f16 v16, v87, v16, -v68
	;; [unrolled: 4-line block ×3, first 2 shown]
	s_waitcnt lgkmcnt(3)
	v_mul_f16_sdwa v59, v103, v19 dst_sel:DWORD dst_unused:UNUSED_PAD src0_sel:DWORD src1_sel:WORD_1
	v_fmac_f16_e32 v68, v60, v18
	v_mul_f16_sdwa v60, v65, v19 dst_sel:DWORD dst_unused:UNUSED_PAD src0_sel:DWORD src1_sel:WORD_1
	v_fma_f16 v18, v83, v18, -v61
	s_waitcnt vmcnt(5)
	v_mul_f16_sdwa v61, v97, v4 dst_sel:DWORD dst_unused:UNUSED_PAD src0_sel:DWORD src1_sel:WORD_1
	v_fmac_f16_e32 v59, v65, v19
	ds_read_u16 v65, v33 offset:4800
	v_fma_f16 v19, v103, v19, -v60
	v_mul_f16_sdwa v60, v63, v4 dst_sel:DWORD dst_unused:UNUSED_PAD src0_sel:DWORD src1_sel:WORD_1
	v_fmac_f16_e32 v61, v63, v4
	ds_read_u16 v63, v33 offset:4992
	v_mul_f16_sdwa v82, v96, v5 dst_sel:DWORD dst_unused:UNUSED_PAD src0_sel:DWORD src1_sel:WORD_1
	v_mul_f16_sdwa v83, v58, v5 dst_sel:DWORD dst_unused:UNUSED_PAD src0_sel:DWORD src1_sel:WORD_1
	v_fma_f16 v4, v97, v4, -v60
	s_waitcnt lgkmcnt(3)
	v_mul_f16_sdwa v60, v105, v6 dst_sel:DWORD dst_unused:UNUSED_PAD src0_sel:DWORD src1_sel:WORD_1
	ds_read_u16 v85, v33 offset:5568
	v_fmac_f16_e32 v82, v58, v5
	v_fma_f16 v5, v96, v5, -v83
	ds_read_u16 v83, v33 offset:5376
	v_mul_f16_sdwa v58, v62, v6 dst_sel:DWORD dst_unused:UNUSED_PAD src0_sel:DWORD src1_sel:WORD_1
	v_fmac_f16_e32 v60, v62, v6
	v_mul_f16_sdwa v62, v104, v7 dst_sel:DWORD dst_unused:UNUSED_PAD src0_sel:DWORD src1_sel:WORD_1
	v_mul_f16_sdwa v86, v57, v7 dst_sel:DWORD dst_unused:UNUSED_PAD src0_sel:DWORD src1_sel:WORD_1
	v_fma_f16 v6, v105, v6, -v58
	ds_read_u16 v58, v34
	s_waitcnt vmcnt(4) lgkmcnt(4)
	v_mul_f16_sdwa v87, v65, v77 dst_sel:DWORD dst_unused:UNUSED_PAD src0_sel:DWORD src1_sel:WORD_1
	v_fmac_f16_e32 v62, v57, v7
	v_fma_f16 v7, v104, v7, -v86
	v_mul_f16_sdwa v57, v55, v77 dst_sel:DWORD dst_unused:UNUSED_PAD src0_sel:DWORD src1_sel:WORD_1
	s_waitcnt vmcnt(3) lgkmcnt(3)
	v_mul_f16_sdwa v86, v63, v78 dst_sel:DWORD dst_unused:UNUSED_PAD src0_sel:DWORD src1_sel:WORD_1
	v_fmac_f16_e32 v87, v55, v77
	v_mul_f16_sdwa v55, v54, v78 dst_sel:DWORD dst_unused:UNUSED_PAD src0_sel:DWORD src1_sel:WORD_1
	s_waitcnt vmcnt(2)
	v_mul_f16_sdwa v90, v84, v79 dst_sel:DWORD dst_unused:UNUSED_PAD src0_sel:DWORD src1_sel:WORD_1
	v_fma_f16 v57, v65, v77, -v57
	v_fmac_f16_e32 v86, v54, v78
	v_mul_f16_sdwa v54, v53, v79 dst_sel:DWORD dst_unused:UNUSED_PAD src0_sel:DWORD src1_sel:WORD_1
	v_fma_f16 v55, v63, v78, -v55
	v_fmac_f16_e32 v90, v53, v79
	s_waitcnt vmcnt(1) lgkmcnt(1)
	v_mul_f16_sdwa v53, v83, v80 dst_sel:DWORD dst_unused:UNUSED_PAD src0_sel:DWORD src1_sel:WORD_1
	v_mul_f16_sdwa v63, v52, v80 dst_sel:DWORD dst_unused:UNUSED_PAD src0_sel:DWORD src1_sel:WORD_1
	s_waitcnt vmcnt(0)
	v_mul_f16_sdwa v65, v85, v81 dst_sel:DWORD dst_unused:UNUSED_PAD src0_sel:DWORD src1_sel:WORD_1
	v_mul_f16_sdwa v77, v56, v81 dst_sel:DWORD dst_unused:UNUSED_PAD src0_sel:DWORD src1_sel:WORD_1
	v_add_f16_e32 v78, v46, v98
	v_fmac_f16_e32 v53, v52, v80
	v_fma_f16 v52, v83, v80, -v63
	v_add_f16_e32 v63, v98, v106
	v_fmac_f16_e32 v65, v56, v81
	v_fma_f16 v56, v85, v81, -v77
	v_add_f16_e32 v77, v1, v3
	v_add_f16_e32 v80, v2, v57
	v_fmac_f16_e32 v46, -0.5, v63
	v_sub_f16_e32 v63, v1, v3
	v_add_f16_e32 v1, v100, v1
	v_fma_f16 v54, v84, v79, -v54
	v_fmac_f16_e32 v100, -0.5, v77
	v_add_f16_e32 v77, v78, v106
	v_sub_f16_e32 v78, v98, v106
	v_fmamk_f16 v79, v63, 0xbaee, v46
	v_fmac_f16_e32 v46, 0x3aee, v63
	v_add_f16_e32 v1, v1, v3
	v_add_f16_e32 v3, v73, v87
	;; [unrolled: 1-line block ×3, first 2 shown]
	v_fmac_f16_e32 v0, -0.5, v80
	v_add_f16_e32 v80, v89, v73
	v_sub_f16_e32 v73, v73, v87
	v_fmac_f16_e32 v89, -0.5, v3
	v_fmamk_f16 v3, v78, 0x3aee, v100
	v_sub_f16_e32 v2, v2, v57
	v_fmac_f16_e32 v100, 0xbaee, v78
	v_fmamk_f16 v78, v73, 0x3aee, v0
	v_add_f16_e32 v80, v80, v87
	v_fmac_f16_e32 v0, 0xbaee, v73
	v_fmamk_f16 v73, v2, 0xbaee, v89
	v_fmac_f16_e32 v89, 0x3aee, v2
	v_mul_f16_e32 v2, 0xbaee, v78
	v_mul_f16_e32 v78, 0.5, v78
	v_add_f16_e32 v57, v63, v57
	v_add_f16_e32 v63, v77, v80
	;; [unrolled: 1-line block ×3, first 2 shown]
	v_fmac_f16_e32 v2, 0.5, v73
	v_fmac_f16_e32 v78, 0x3aee, v73
	v_sub_f16_e32 v73, v77, v80
	v_add_f16_e32 v80, v1, v57
	v_sub_f16_e32 v1, v1, v57
	v_add_f16_e32 v57, v74, v69
	v_add_f16_e32 v84, v43, v74
	v_add_f16_e32 v85, v14, v55
	v_add_f16_e32 v87, v8, v10
	v_mul_f16_e32 v81, 0xbaee, v0
	v_fmac_f16_e32 v43, -0.5, v57
	v_sub_f16_e32 v57, v13, v15
	v_add_f16_e32 v13, v101, v13
	v_fmac_f16_e32 v101, -0.5, v83
	v_add_f16_e32 v83, v84, v69
	v_sub_f16_e32 v69, v74, v69
	v_fmamk_f16 v74, v57, 0xbaee, v43
	v_add_f16_e32 v84, v75, v86
	v_fmac_f16_e32 v43, 0x3aee, v57
	v_add_f16_e32 v13, v13, v15
	v_add_f16_e32 v15, v76, v75
	;; [unrolled: 1-line block ×3, first 2 shown]
	v_fmac_f16_e32 v12, -0.5, v85
	v_sub_f16_e32 v75, v75, v86
	v_fmac_f16_e32 v76, -0.5, v84
	v_sub_f16_e32 v14, v14, v55
	v_fmamk_f16 v84, v69, 0x3aee, v101
	v_fmac_f16_e32 v101, 0xbaee, v69
	v_fmamk_f16 v69, v75, 0x3aee, v12
	v_fmac_f16_e32 v12, 0xbaee, v75
	;; [unrolled: 2-line block ×3, first 2 shown]
	v_add_f16_e32 v55, v57, v55
	v_mul_f16_e32 v14, 0xbaee, v69
	v_mul_f16_e32 v69, 0.5, v69
	v_mul_f16_e32 v85, 0xbaee, v12
	v_mul_f16_e32 v12, -0.5, v12
	v_add_f16_e32 v15, v15, v86
	v_add_f16_e32 v86, v41, v70
	v_fmac_f16_e32 v69, 0x3aee, v75
	v_fmac_f16_e32 v85, -0.5, v76
	v_fmac_f16_e32 v12, 0x3aee, v76
	v_add_f16_e32 v76, v13, v55
	v_sub_f16_e32 v13, v13, v55
	v_add_f16_e32 v55, v70, v64
	v_add_f16_e32 v57, v83, v15
	v_sub_f16_e32 v15, v83, v15
	v_add_f16_e32 v83, v84, v69
	v_sub_f16_e32 v84, v84, v69
	v_add_f16_e32 v69, v9, v11
	v_fmac_f16_e32 v41, -0.5, v55
	v_sub_f16_e32 v55, v9, v11
	v_add_f16_e32 v9, v102, v9
	v_mul_f16_e32 v0, -0.5, v0
	v_fmac_f16_e32 v102, -0.5, v69
	v_add_f16_e32 v69, v86, v64
	v_sub_f16_e32 v64, v70, v64
	v_fmamk_f16 v70, v55, 0xbaee, v41
	v_fmac_f16_e32 v41, 0x3aee, v55
	v_add_f16_e32 v55, v10, v54
	v_add_f16_e32 v86, v72, v90
	;; [unrolled: 1-line block ×3, first 2 shown]
	v_fmamk_f16 v11, v64, 0x3aee, v102
	v_sub_f16_e32 v10, v10, v54
	v_fmac_f16_e32 v8, -0.5, v55
	v_sub_f16_e32 v55, v72, v90
	v_add_f16_e32 v72, v71, v72
	v_fmac_f16_e32 v71, -0.5, v86
	v_fmac_f16_e32 v102, 0xbaee, v64
	v_add_f16_e32 v54, v87, v54
	v_fmamk_f16 v64, v55, 0x3aee, v8
	v_fmac_f16_e32 v8, 0xbaee, v55
	v_add_f16_e32 v72, v72, v90
	v_fmamk_f16 v55, v10, 0xbaee, v71
	v_fmac_f16_e32 v71, 0x3aee, v10
	v_mul_f16_e32 v10, 0xbaee, v64
	v_mul_f16_e32 v64, 0.5, v64
	v_mul_f16_e32 v86, 0xbaee, v8
	v_mul_f16_e32 v8, -0.5, v8
	v_fmac_f16_e32 v81, -0.5, v89
	v_fmac_f16_e32 v10, 0.5, v55
	v_fmac_f16_e32 v64, 0x3aee, v55
	v_fmac_f16_e32 v86, -0.5, v71
	v_add_f16_e32 v55, v69, v72
	v_sub_f16_e32 v69, v69, v72
	v_add_f16_e32 v72, v9, v54
	v_sub_f16_e32 v9, v9, v54
	v_add_f16_e32 v54, v66, v59
	v_fmac_f16_e32 v0, 0x3aee, v89
	v_fmac_f16_e32 v8, 0x3aee, v71
	v_add_f16_e32 v71, v70, v10
	v_sub_f16_e32 v10, v70, v10
	v_add_f16_e32 v70, v41, v86
	v_sub_f16_e32 v41, v41, v86
	;; [unrolled: 2-line block ×3, first 2 shown]
	v_add_f16_e32 v64, v17, v19
	v_add_f16_e32 v89, v35, v66
	v_fmac_f16_e32 v35, -0.5, v54
	v_sub_f16_e32 v54, v17, v19
	v_add_f16_e32 v17, v88, v17
	v_fmac_f16_e32 v88, -0.5, v64
	v_add_f16_e32 v64, v89, v59
	v_sub_f16_e32 v59, v66, v59
	v_fmamk_f16 v66, v54, 0xbaee, v35
	v_fmac_f16_e32 v35, 0x3aee, v54
	v_add_f16_e32 v54, v18, v52
	v_add_f16_e32 v89, v68, v53
	;; [unrolled: 1-line block ×4, first 2 shown]
	v_fmamk_f16 v19, v59, 0x3aee, v88
	v_fmac_f16_e32 v16, -0.5, v54
	v_sub_f16_e32 v54, v68, v53
	v_add_f16_e32 v68, v67, v68
	v_fmac_f16_e32 v67, -0.5, v89
	v_sub_f16_e32 v18, v18, v52
	v_fmac_f16_e32 v88, 0xbaee, v59
	v_fmamk_f16 v59, v54, 0x3aee, v16
	v_fmac_f16_e32 v16, 0xbaee, v54
	v_add_f16_e32 v53, v68, v53
	v_fmamk_f16 v54, v18, 0xbaee, v67
	v_fmac_f16_e32 v67, 0x3aee, v18
	v_mul_f16_e32 v18, 0xbaee, v59
	v_mul_f16_e32 v68, 0xbaee, v16
	v_mul_f16_e32 v59, 0.5, v59
	v_mul_f16_e32 v16, -0.5, v16
	v_add_f16_e32 v52, v90, v52
	v_fmac_f16_e32 v18, 0.5, v54
	v_fmac_f16_e32 v68, -0.5, v67
	v_fmac_f16_e32 v59, 0x3aee, v54
	v_fmac_f16_e32 v16, 0x3aee, v67
	v_add_f16_e32 v54, v64, v53
	v_sub_f16_e32 v53, v64, v53
	v_add_f16_e32 v64, v66, v18
	v_sub_f16_e32 v18, v66, v18
	;; [unrolled: 2-line block ×3, first 2 shown]
	v_add_f16_e32 v35, v82, v62
	v_add_f16_e32 v89, v17, v52
	v_sub_f16_e32 v17, v17, v52
	v_add_f16_e32 v90, v19, v59
	v_sub_f16_e32 v19, v19, v59
	v_add_f16_e32 v52, v5, v7
	v_add_f16_e32 v59, v31, v82
	v_fmac_f16_e32 v31, -0.5, v35
	v_sub_f16_e32 v35, v5, v7
	s_waitcnt lgkmcnt(0)
	v_add_f16_e32 v5, v58, v5
	v_fmac_f16_e32 v58, -0.5, v52
	v_add_f16_e32 v52, v59, v62
	v_sub_f16_e32 v59, v82, v62
	v_fmamk_f16 v62, v35, 0xbaee, v31
	v_fmac_f16_e32 v31, 0x3aee, v35
	v_add_f16_e32 v35, v6, v56
	v_add_f16_e32 v68, v60, v65
	;; [unrolled: 1-line block ×4, first 2 shown]
	v_fmamk_f16 v7, v59, 0x3aee, v58
	v_fmac_f16_e32 v4, -0.5, v35
	v_sub_f16_e32 v35, v60, v65
	v_add_f16_e32 v60, v61, v60
	v_fmac_f16_e32 v61, -0.5, v68
	v_sub_f16_e32 v6, v6, v56
	v_fmac_f16_e32 v58, 0xbaee, v59
	v_fmamk_f16 v59, v35, 0x3aee, v4
	v_fmac_f16_e32 v4, 0xbaee, v35
	v_mov_b32_e32 v68, 0x78
	v_fmamk_f16 v35, v6, 0xbaee, v61
	v_fmac_f16_e32 v61, 0x3aee, v6
	v_mul_f16_e32 v6, 0xbaee, v59
	v_mul_f16_e32 v59, 0.5, v59
	v_mul_u32_u24_sdwa v32, v32, v68 dst_sel:DWORD dst_unused:UNUSED_PAD src0_sel:WORD_0 src1_sel:DWORD
	v_fmac_f16_e32 v14, 0.5, v75
	v_add_f16_e32 v77, v79, v2
	v_fmac_f16_e32 v6, 0.5, v35
	v_fmac_f16_e32 v59, 0x3aee, v35
	v_mov_b32_e32 v35, 1
	v_sub_f16_e32 v2, v79, v2
	v_add_f16_e32 v79, v46, v81
	v_add_f16_e32 v75, v74, v14
	v_sub_f16_e32 v14, v74, v14
	v_lshlrev_b32_sdwa v40, v35, v40 dst_sel:DWORD dst_unused:UNUSED_PAD src0_sel:DWORD src1_sel:BYTE_0
	s_barrier
	buffer_gl0_inv
	v_add_f16_e32 v74, v43, v85
	v_add3_u32 v32, 0, v32, v40
	v_mul_u32_u24_sdwa v40, v42, v68 dst_sel:DWORD dst_unused:UNUSED_PAD src0_sel:WORD_0 src1_sel:DWORD
	v_lshlrev_b32_sdwa v42, v35, v45 dst_sel:DWORD dst_unused:UNUSED_PAD src0_sel:DWORD src1_sel:BYTE_0
	ds_write_b16 v32, v63
	ds_write_b16 v32, v77 offset:20
	v_sub_f16_e32 v43, v43, v85
	v_add3_u32 v63, 0, v40, v42
	v_sub_f16_e32 v46, v46, v81
	v_add_f16_e32 v60, v60, v65
	v_mul_f16_e32 v65, 0xbaee, v4
	ds_write_b16 v32, v79 offset:40
	ds_write_b16 v32, v73 offset:60
	;; [unrolled: 1-line block ×4, first 2 shown]
	v_mul_u32_u24_e32 v2, 0x78, v44
	v_lshlrev_b32_sdwa v40, v35, v49 dst_sel:DWORD dst_unused:UNUSED_PAD src0_sel:DWORD src1_sel:WORD_0
	ds_write_b16 v63, v57
	ds_write_b16 v63, v75 offset:20
	ds_write_b16 v63, v74 offset:40
	;; [unrolled: 1-line block ×5, first 2 shown]
	v_mul_u32_u24_e32 v14, 0x78, v47
	v_lshlrev_b32_sdwa v15, v35, v48 dst_sel:DWORD dst_unused:UNUSED_PAD src0_sel:DWORD src1_sel:WORD_0
	v_mul_f16_e32 v4, -0.5, v4
	v_fmac_f16_e32 v65, -0.5, v61
	v_add3_u32 v2, 0, v2, v40
	v_lshlrev_b32_sdwa v40, v35, v51 dst_sel:DWORD dst_unused:UNUSED_PAD src0_sel:DWORD src1_sel:WORD_0
	v_add3_u32 v14, 0, v14, v15
	v_mul_u32_u24_e32 v15, 0x78, v50
	v_add_f16_e32 v56, v82, v56
	v_fmac_f16_e32 v4, 0x3aee, v61
	v_add_f16_e32 v81, v3, v78
	v_sub_f16_e32 v3, v3, v78
	v_add_f16_e32 v78, v100, v0
	v_sub_f16_e32 v0, v100, v0
	;; [unrolled: 2-line block ×4, first 2 shown]
	v_add_f16_e32 v62, v31, v65
	ds_write_b16 v2, v55
	ds_write_b16 v2, v71 offset:20
	ds_write_b16 v2, v70 offset:40
	;; [unrolled: 1-line block ×5, first 2 shown]
	ds_write_b16 v14, v54
	ds_write_b16 v14, v64 offset:20
	v_add3_u32 v10, 0, v15, v40
	v_add_f16_e32 v85, v101, v12
	v_sub_f16_e32 v12, v101, v12
	v_add_f16_e32 v91, v88, v16
	v_sub_f16_e32 v16, v88, v16
	v_sub_f16_e32 v31, v31, v65
	v_add_f16_e32 v65, v5, v56
	v_sub_f16_e32 v5, v5, v56
	v_add_f16_e32 v82, v7, v59
	;; [unrolled: 2-line block ×3, first 2 shown]
	v_sub_f16_e32 v4, v58, v4
	ds_write_b16 v14, v66 offset:40
	ds_write_b16 v14, v53 offset:60
	ds_write_b16 v14, v18 offset:80
	ds_write_b16 v14, v67 offset:100
	ds_write_b16 v10, v61
	ds_write_b16 v10, v60 offset:20
	ds_write_b16 v10, v62 offset:40
	;; [unrolled: 1-line block ×5, first 2 shown]
	s_waitcnt lgkmcnt(0)
	s_barrier
	buffer_gl0_inv
	ds_read_u16 v45, v33
	ds_read_u16 v43, v33 offset:192
	ds_read_u16 v42, v33 offset:384
	ds_read_u16 v58, v33 offset:1344
	ds_read_u16 v53, v33 offset:1536
	ds_read_u16 v64, v33 offset:1152
	ds_read_u16 v70, v33 offset:960
	ds_read_u16 v41, v33 offset:576
	ds_read_u16 v61, v33 offset:2304
	ds_read_u16 v55, v33 offset:2496
	ds_read_u16 v60, v33 offset:3264
	ds_read_u16 v54, v33 offset:3456
	ds_read_u16 v49, v33 offset:4800
	ds_read_u16 v48, v33 offset:4992
	ds_read_u16 v47, v33 offset:5184
	ds_read_u16 v46, v33 offset:5376
	ds_read_u16 v66, v33 offset:3072
	ds_read_u16 v69, v33 offset:2880
	ds_read_u16 v52, v33 offset:2688
	ds_read_u16 v67, v33 offset:2112
	ds_read_u16 v74, v33 offset:1920
	ds_read_u16 v57, v33 offset:1728
	ds_read_u16 v62, v33 offset:4224
	ds_read_u16 v59, v33 offset:4416
	ds_read_u16 v51, v33 offset:4608
	ds_read_u16 v68, v33 offset:4032
	ds_read_u16 v71, v33 offset:3840
	ds_read_u16 v56, v33 offset:3648
	ds_read_u16 v40, v34
	ds_read_u16 v50, v33 offset:5568
	s_waitcnt lgkmcnt(0)
	s_barrier
	buffer_gl0_inv
	ds_write_b16 v32, v80
	ds_write_b16 v32, v81 offset:20
	ds_write_b16 v32, v78 offset:40
	;; [unrolled: 1-line block ×5, first 2 shown]
	ds_write_b16 v63, v76
	ds_write_b16 v63, v83 offset:20
	ds_write_b16 v63, v85 offset:40
	ds_write_b16 v63, v13 offset:60
	ds_write_b16 v63, v84 offset:80
	ds_write_b16 v63, v12 offset:100
	ds_write_b16 v2, v72
	v_subrev_nc_u32_e32 v0, 60, v20
	v_add_f16_e32 v87, v102, v8
	v_sub_f16_e32 v8, v102, v8
	ds_write_b16 v2, v86 offset:20
	ds_write_b16 v2, v87 offset:40
	;; [unrolled: 1-line block ×4, first 2 shown]
	v_cndmask_b32_e64 v44, v0, v20, s0
	ds_write_b16 v2, v8 offset:100
	ds_write_b16 v14, v89
	ds_write_b16 v14, v90 offset:20
	ds_write_b16 v14, v91 offset:40
	v_mov_b32_e32 v32, 0
	ds_write_b16 v14, v17 offset:60
	ds_write_b16 v14, v19 offset:80
	ds_write_b16 v14, v16 offset:100
	ds_write_b16 v10, v65
	ds_write_b16 v10, v82 offset:20
	ds_write_b16 v10, v88 offset:40
	;; [unrolled: 1-line block ×4, first 2 shown]
	v_mul_i32_i24_e32 v31, 5, v44
	ds_write_b16 v10, v4 offset:100
	v_mul_lo_u16 v4, 0x89, v39
	v_mov_b32_e32 v12, 0x8889
	s_waitcnt lgkmcnt(0)
	v_lshlrev_b64 v[0:1], 2, v[31:32]
	s_barrier
	v_lshrrev_b16 v31, 13, v4
	buffer_gl0_inv
	v_lshlrev_b32_e32 v44, 1, v44
	v_add_co_u32 v75, s0, s12, v0
	v_mul_lo_u16 v4, v31, 60
	v_add_co_ci_u32_e64 v76, s0, s13, v1, s0
	v_cmp_lt_u32_e64 s0, 59, v20
	v_sub_nc_u16 v39, v37, v4
	v_mul_u32_u24_sdwa v4, v38, v12 dst_sel:DWORD dst_unused:UNUSED_PAD src0_sel:WORD_0 src1_sel:DWORD
	global_load_dwordx4 v[0:3], v[75:76], off offset:200
	v_mul_u32_u24_sdwa v5, v39, v36 dst_sel:DWORD dst_unused:UNUSED_PAD src0_sel:BYTE_0 src1_sel:DWORD
	v_lshrrev_b32_e32 v37, 21, v4
	v_lshlrev_b32_sdwa v39, v35, v39 dst_sel:DWORD dst_unused:UNUSED_PAD src0_sel:DWORD src1_sel:BYTE_0
	v_lshlrev_b32_e32 v77, 2, v5
	v_mul_lo_u16 v8, v37, 60
	global_load_dwordx4 v[4:7], v77, s[12:13] offset:200
	v_sub_nc_u16 v38, v38, v8
	v_mul_u32_u24_sdwa v8, v27, v12 dst_sel:DWORD dst_unused:UNUSED_PAD src0_sel:WORD_0 src1_sel:DWORD
	v_mul_u32_u24_sdwa v12, v29, v12 dst_sel:DWORD dst_unused:UNUSED_PAD src0_sel:WORD_0 src1_sel:DWORD
	;; [unrolled: 1-line block ×3, first 2 shown]
	v_lshrrev_b32_e32 v63, 21, v8
	v_lshrrev_b32_e32 v72, 21, v12
	v_lshlrev_b32_e32 v79, 2, v9
	v_mul_lo_u16 v13, v63, 60
	v_mul_lo_u16 v16, v72, 60
	global_load_dwordx4 v[8:11], v79, s[12:13] offset:200
	v_sub_nc_u16 v65, v27, v13
	v_sub_nc_u16 v73, v29, v16
	v_mul_u32_u24_sdwa v13, v65, v36 dst_sel:DWORD dst_unused:UNUSED_PAD src0_sel:WORD_0 src1_sel:DWORD
	v_mul_u32_u24_sdwa v16, v73, v36 dst_sel:DWORD dst_unused:UNUSED_PAD src0_sel:WORD_0 src1_sel:DWORD
	v_lshlrev_b32_e32 v80, 2, v13
	v_lshlrev_b32_e32 v36, 2, v16
	s_clause 0x6
	global_load_dwordx4 v[12:15], v80, s[12:13] offset:200
	global_load_dwordx4 v[16:19], v36, s[12:13] offset:200
	global_load_dword v78, v[75:76], off offset:216
	global_load_dword v77, v77, s[12:13] offset:216
	global_load_dword v76, v79, s[12:13] offset:216
	;; [unrolled: 1-line block ×4, first 2 shown]
	ds_read_u16 v84, v33 offset:960
	ds_read_u16 v82, v33 offset:1920
	;; [unrolled: 1-line block ×14, first 2 shown]
	s_waitcnt vmcnt(9) lgkmcnt(13)
	v_mul_f16_sdwa v87, v84, v0 dst_sel:DWORD dst_unused:UNUSED_PAD src0_sel:DWORD src1_sel:WORD_1
	v_mul_f16_sdwa v88, v70, v0 dst_sel:DWORD dst_unused:UNUSED_PAD src0_sel:DWORD src1_sel:WORD_1
	s_waitcnt lgkmcnt(12)
	v_mul_f16_sdwa v95, v82, v1 dst_sel:DWORD dst_unused:UNUSED_PAD src0_sel:DWORD src1_sel:WORD_1
	s_waitcnt lgkmcnt(10)
	v_mul_f16_sdwa v100, v79, v3 dst_sel:DWORD dst_unused:UNUSED_PAD src0_sel:DWORD src1_sel:WORD_1
	v_fmac_f16_e32 v87, v70, v0
	v_mul_f16_sdwa v70, v74, v1 dst_sel:DWORD dst_unused:UNUSED_PAD src0_sel:DWORD src1_sel:WORD_1
	v_fma_f16 v0, v84, v0, -v88
	v_fmac_f16_e32 v95, v74, v1
	v_mul_f16_sdwa v84, v80, v2 dst_sel:DWORD dst_unused:UNUSED_PAD src0_sel:DWORD src1_sel:WORD_1
	v_mul_f16_sdwa v74, v69, v2 dst_sel:DWORD dst_unused:UNUSED_PAD src0_sel:DWORD src1_sel:WORD_1
	v_fma_f16 v1, v82, v1, -v70
	ds_read_u16 v70, v33 offset:3264
	ds_read_u16 v82, v33 offset:3456
	;; [unrolled: 1-line block ×7, first 2 shown]
	v_fmac_f16_e32 v100, v71, v3
	v_fmac_f16_e32 v84, v69, v2
	v_mul_f16_sdwa v69, v71, v3 dst_sel:DWORD dst_unused:UNUSED_PAD src0_sel:DWORD src1_sel:WORD_1
	v_fma_f16 v2, v80, v2, -v74
	s_waitcnt vmcnt(8) lgkmcnt(16)
	v_mul_f16_sdwa v74, v81, v4 dst_sel:DWORD dst_unused:UNUSED_PAD src0_sel:DWORD src1_sel:WORD_1
	v_mul_f16_sdwa v71, v64, v4 dst_sel:DWORD dst_unused:UNUSED_PAD src0_sel:DWORD src1_sel:WORD_1
	v_fma_f16 v3, v79, v3, -v69
	s_waitcnt lgkmcnt(11)
	v_mul_f16_sdwa v69, v90, v5 dst_sel:DWORD dst_unused:UNUSED_PAD src0_sel:DWORD src1_sel:WORD_1
	v_fmac_f16_e32 v74, v64, v4
	v_mul_f16_sdwa v64, v67, v5 dst_sel:DWORD dst_unused:UNUSED_PAD src0_sel:DWORD src1_sel:WORD_1
	v_fma_f16 v4, v81, v4, -v71
	v_mul_f16_sdwa v71, v89, v6 dst_sel:DWORD dst_unused:UNUSED_PAD src0_sel:DWORD src1_sel:WORD_1
	v_fmac_f16_e32 v69, v67, v5
	v_mul_f16_sdwa v67, v66, v6 dst_sel:DWORD dst_unused:UNUSED_PAD src0_sel:DWORD src1_sel:WORD_1
	v_fma_f16 v5, v90, v5, -v64
	s_waitcnt lgkmcnt(4)
	v_mul_f16_sdwa v64, v88, v7 dst_sel:DWORD dst_unused:UNUSED_PAD src0_sel:DWORD src1_sel:WORD_1
	v_fmac_f16_e32 v71, v66, v6
	v_mul_f16_sdwa v66, v68, v7 dst_sel:DWORD dst_unused:UNUSED_PAD src0_sel:DWORD src1_sel:WORD_1
	v_fma_f16 v6, v89, v6, -v67
	s_waitcnt vmcnt(7)
	v_mul_f16_sdwa v67, v83, v8 dst_sel:DWORD dst_unused:UNUSED_PAD src0_sel:DWORD src1_sel:WORD_1
	v_fmac_f16_e32 v64, v68, v7
	v_mul_f16_sdwa v68, v58, v8 dst_sel:DWORD dst_unused:UNUSED_PAD src0_sel:DWORD src1_sel:WORD_1
	v_fma_f16 v7, v88, v7, -v66
	v_mul_f16_sdwa v66, v91, v9 dst_sel:DWORD dst_unused:UNUSED_PAD src0_sel:DWORD src1_sel:WORD_1
	v_fmac_f16_e32 v67, v58, v8
	v_mul_f16_sdwa v58, v61, v9 dst_sel:DWORD dst_unused:UNUSED_PAD src0_sel:DWORD src1_sel:WORD_1
	v_fma_f16 v8, v83, v8, -v68
	v_mul_f16_sdwa v68, v70, v10 dst_sel:DWORD dst_unused:UNUSED_PAD src0_sel:DWORD src1_sel:WORD_1
	v_fmac_f16_e32 v66, v61, v9
	v_mul_f16_sdwa v61, v60, v10 dst_sel:DWORD dst_unused:UNUSED_PAD src0_sel:DWORD src1_sel:WORD_1
	s_waitcnt lgkmcnt(3)
	v_mul_f16_sdwa v79, v96, v11 dst_sel:DWORD dst_unused:UNUSED_PAD src0_sel:DWORD src1_sel:WORD_1
	v_fma_f16 v9, v91, v9, -v58
	v_fmac_f16_e32 v68, v60, v10
	v_mul_f16_sdwa v58, v62, v11 dst_sel:DWORD dst_unused:UNUSED_PAD src0_sel:DWORD src1_sel:WORD_1
	v_fma_f16 v10, v70, v10, -v61
	s_waitcnt vmcnt(6)
	v_mul_f16_sdwa v61, v85, v12 dst_sel:DWORD dst_unused:UNUSED_PAD src0_sel:DWORD src1_sel:WORD_1
	v_fmac_f16_e32 v79, v62, v11
	v_mul_f16_sdwa v60, v53, v12 dst_sel:DWORD dst_unused:UNUSED_PAD src0_sel:DWORD src1_sel:WORD_1
	v_mul_f16_sdwa v62, v92, v13 dst_sel:DWORD dst_unused:UNUSED_PAD src0_sel:DWORD src1_sel:WORD_1
	s_waitcnt lgkmcnt(2)
	v_mul_f16_sdwa v81, v97, v15 dst_sel:DWORD dst_unused:UNUSED_PAD src0_sel:DWORD src1_sel:WORD_1
	v_fmac_f16_e32 v61, v53, v12
	v_mul_f16_sdwa v53, v55, v13 dst_sel:DWORD dst_unused:UNUSED_PAD src0_sel:DWORD src1_sel:WORD_1
	v_fma_f16 v70, v85, v12, -v60
	v_mul_f16_sdwa v12, v82, v14 dst_sel:DWORD dst_unused:UNUSED_PAD src0_sel:DWORD src1_sel:WORD_1
	v_fmac_f16_e32 v62, v55, v13
	v_mul_f16_sdwa v55, v54, v14 dst_sel:DWORD dst_unused:UNUSED_PAD src0_sel:DWORD src1_sel:WORD_1
	v_fma_f16 v80, v92, v13, -v53
	v_mul_f16_sdwa v13, v59, v15 dst_sel:DWORD dst_unused:UNUSED_PAD src0_sel:DWORD src1_sel:WORD_1
	v_fmac_f16_e32 v12, v54, v14
	v_fmac_f16_e32 v81, v59, v15
	v_fma_f16 v14, v82, v14, -v55
	s_waitcnt vmcnt(5)
	v_mul_f16_sdwa v82, v94, v16 dst_sel:DWORD dst_unused:UNUSED_PAD src0_sel:DWORD src1_sel:WORD_1
	ds_read_u16 v53, v33 offset:4800
	v_fma_f16 v83, v97, v15, -v13
	ds_read_u16 v15, v33 offset:4992
	v_mul_f16_sdwa v13, v57, v16 dst_sel:DWORD dst_unused:UNUSED_PAD src0_sel:DWORD src1_sel:WORD_1
	v_fmac_f16_e32 v82, v57, v16
	ds_read_u16 v57, v33 offset:5184
	v_mul_f16_sdwa v85, v93, v17 dst_sel:DWORD dst_unused:UNUSED_PAD src0_sel:DWORD src1_sel:WORD_1
	v_mul_f16_sdwa v54, v52, v17 dst_sel:DWORD dst_unused:UNUSED_PAD src0_sel:DWORD src1_sel:WORD_1
	s_waitcnt lgkmcnt(3)
	v_mul_f16_sdwa v55, v99, v18 dst_sel:DWORD dst_unused:UNUSED_PAD src0_sel:DWORD src1_sel:WORD_1
	v_fma_f16 v88, v94, v16, -v13
	v_mul_f16_sdwa v13, v56, v18 dst_sel:DWORD dst_unused:UNUSED_PAD src0_sel:DWORD src1_sel:WORD_1
	ds_read_u16 v16, v33 offset:5376
	ds_read_u16 v91, v34
	v_fmac_f16_e32 v85, v52, v17
	v_fma_f16 v89, v93, v17, -v54
	v_fmac_f16_e32 v55, v56, v18
	v_fma_f16 v13, v99, v18, -v13
	ds_read_u16 v17, v33 offset:5568
	v_mul_f16_sdwa v18, v51, v19 dst_sel:DWORD dst_unused:UNUSED_PAD src0_sel:DWORD src1_sel:WORD_1
	v_mul_f16_sdwa v90, v98, v19 dst_sel:DWORD dst_unused:UNUSED_PAD src0_sel:DWORD src1_sel:WORD_1
	s_waitcnt vmcnt(4) lgkmcnt(5)
	v_mul_f16_sdwa v52, v53, v78 dst_sel:DWORD dst_unused:UNUSED_PAD src0_sel:DWORD src1_sel:WORD_1
	v_mul_f16_sdwa v54, v49, v78 dst_sel:DWORD dst_unused:UNUSED_PAD src0_sel:DWORD src1_sel:WORD_1
	v_fma_f16 v11, v96, v11, -v58
	v_fma_f16 v92, v98, v19, -v18
	s_waitcnt vmcnt(3) lgkmcnt(4)
	v_mul_f16_sdwa v18, v15, v77 dst_sel:DWORD dst_unused:UNUSED_PAD src0_sel:DWORD src1_sel:WORD_1
	v_fmac_f16_e32 v90, v51, v19
	v_fmac_f16_e32 v52, v49, v78
	v_mul_f16_sdwa v49, v48, v77 dst_sel:DWORD dst_unused:UNUSED_PAD src0_sel:DWORD src1_sel:WORD_1
	v_fma_f16 v19, v53, v78, -v54
	v_fmac_f16_e32 v18, v48, v77
	ds_read_u16 v48, v33
	s_waitcnt vmcnt(2) lgkmcnt(4)
	v_mul_f16_sdwa v51, v57, v76 dst_sel:DWORD dst_unused:UNUSED_PAD src0_sel:DWORD src1_sel:WORD_1
	v_mul_f16_sdwa v53, v47, v76 dst_sel:DWORD dst_unused:UNUSED_PAD src0_sel:DWORD src1_sel:WORD_1
	v_fma_f16 v77, v15, v77, -v49
	s_waitcnt vmcnt(1) lgkmcnt(3)
	v_mul_f16_sdwa v15, v16, v75 dst_sel:DWORD dst_unused:UNUSED_PAD src0_sel:DWORD src1_sel:WORD_1
	v_add_f16_e32 v96, v4, v6
	v_fmac_f16_e32 v51, v47, v76
	v_mul_f16_sdwa v47, v46, v75 dst_sel:DWORD dst_unused:UNUSED_PAD src0_sel:DWORD src1_sel:WORD_1
	v_fma_f16 v76, v57, v76, -v53
	s_waitcnt vmcnt(0) lgkmcnt(1)
	v_mul_f16_sdwa v49, v17, v36 dst_sel:DWORD dst_unused:UNUSED_PAD src0_sel:DWORD src1_sel:WORD_1
	v_mul_f16_sdwa v53, v50, v36 dst_sel:DWORD dst_unused:UNUSED_PAD src0_sel:DWORD src1_sel:WORD_1
	v_fmac_f16_e32 v15, v46, v75
	v_fma_f16 v75, v16, v75, -v47
	v_add_f16_e32 v16, v95, v100
	v_fmac_f16_e32 v49, v50, v36
	v_fma_f16 v78, v17, v36, -v53
	v_add_f16_e32 v36, v45, v95
	v_add_f16_e32 v17, v1, v3
	v_fmac_f16_e32 v45, -0.5, v16
	v_sub_f16_e32 v16, v1, v3
	s_waitcnt lgkmcnt(0)
	v_add_f16_e32 v1, v48, v1
	v_add_f16_e32 v47, v84, v52
	v_fmac_f16_e32 v48, -0.5, v17
	v_add_f16_e32 v17, v36, v100
	v_fmamk_f16 v46, v16, 0xbaee, v45
	v_fmac_f16_e32 v45, 0x3aee, v16
	v_add_f16_e32 v16, v2, v19
	v_sub_f16_e32 v36, v95, v100
	v_add_f16_e32 v50, v0, v2
	v_add_f16_e32 v1, v1, v3
	;; [unrolled: 1-line block ×3, first 2 shown]
	v_fmac_f16_e32 v0, -0.5, v16
	v_sub_f16_e32 v16, v84, v52
	v_fmamk_f16 v3, v36, 0x3aee, v48
	v_fmac_f16_e32 v87, -0.5, v47
	v_sub_f16_e32 v2, v2, v19
	v_fmac_f16_e32 v48, 0xbaee, v36
	v_fmamk_f16 v36, v16, 0x3aee, v0
	v_fmac_f16_e32 v0, 0xbaee, v16
	v_add_f16_e32 v19, v50, v19
	v_fmamk_f16 v16, v2, 0xbaee, v87
	v_fmac_f16_e32 v87, 0x3aee, v2
	v_mul_f16_e32 v2, 0xbaee, v36
	v_mul_f16_e32 v36, 0.5, v36
	v_add_f16_e32 v47, v53, v52
	v_mul_f16_e32 v52, 0xbaee, v0
	v_mul_f16_e32 v0, -0.5, v0
	v_add_f16_e32 v84, v1, v19
	v_fmac_f16_e32 v36, 0x3aee, v16
	v_sub_f16_e32 v1, v1, v19
	v_add_f16_e32 v19, v6, v77
	v_fmac_f16_e32 v52, -0.5, v87
	v_fmac_f16_e32 v0, 0x3aee, v87
	v_add_f16_e32 v87, v3, v36
	v_sub_f16_e32 v3, v3, v36
	v_add_f16_e32 v36, v69, v64
	v_add_f16_e32 v50, v71, v18
	v_fmac_f16_e32 v4, -0.5, v19
	v_sub_f16_e32 v19, v71, v18
	v_add_f16_e32 v95, v48, v0
	v_sub_f16_e32 v0, v48, v0
	v_add_f16_e32 v48, v43, v69
	v_fmac_f16_e32 v43, -0.5, v36
	v_add_f16_e32 v36, v74, v71
	v_fmac_f16_e32 v74, -0.5, v50
	v_sub_f16_e32 v6, v6, v77
	v_fmamk_f16 v71, v19, 0x3aee, v4
	v_sub_f16_e32 v50, v5, v7
	v_fmac_f16_e32 v4, 0xbaee, v19
	v_fmac_f16_e32 v2, 0.5, v16
	v_fmamk_f16 v97, v6, 0xbaee, v74
	v_mul_f16_e32 v19, 0xbaee, v71
	v_add_f16_e32 v18, v36, v18
	v_add_f16_e32 v36, v48, v64
	v_fmamk_f16 v48, v50, 0xbaee, v43
	v_add_f16_e32 v16, v17, v47
	v_fmac_f16_e32 v19, 0.5, v97
	v_sub_f16_e32 v17, v17, v47
	v_add_f16_e32 v47, v46, v2
	v_sub_f16_e32 v2, v46, v2
	v_add_f16_e32 v46, v45, v52
	v_sub_f16_e32 v45, v45, v52
	v_fmac_f16_e32 v43, 0x3aee, v50
	v_add_f16_e32 v50, v36, v18
	v_sub_f16_e32 v18, v36, v18
	v_add_f16_e32 v36, v66, v79
	v_add_f16_e32 v52, v48, v19
	v_sub_f16_e32 v19, v48, v19
	v_add_f16_e32 v48, v10, v76
	v_add_f16_e32 v53, v42, v66
	v_fmac_f16_e32 v42, -0.5, v36
	v_add_f16_e32 v36, v68, v51
	v_add_f16_e32 v98, v8, v10
	v_fmac_f16_e32 v8, -0.5, v48
	v_sub_f16_e32 v48, v68, v51
	v_fmac_f16_e32 v74, 0x3aee, v6
	v_mul_f16_e32 v6, 0xbaee, v4
	v_add_f16_e32 v56, v67, v68
	v_fmac_f16_e32 v67, -0.5, v36
	v_sub_f16_e32 v10, v10, v76
	v_fmamk_f16 v68, v48, 0x3aee, v8
	v_fmac_f16_e32 v6, -0.5, v74
	v_sub_f16_e32 v54, v9, v11
	v_add_f16_e32 v51, v56, v51
	v_fmamk_f16 v99, v10, 0xbaee, v67
	v_mul_f16_e32 v57, 0xbaee, v68
	v_add_f16_e32 v36, v43, v6
	v_sub_f16_e32 v6, v43, v6
	v_fmamk_f16 v43, v54, 0xbaee, v42
	v_add_f16_e32 v53, v53, v79
	v_fmac_f16_e32 v42, 0x3aee, v54
	v_fmac_f16_e32 v57, 0.5, v99
	v_add_f16_e32 v54, v62, v81
	v_add_f16_e32 v56, v14, v75
	v_fmac_f16_e32 v8, 0xbaee, v48
	v_fmac_f16_e32 v67, 0x3aee, v10
	v_add_f16_e32 v10, v53, v51
	v_sub_f16_e32 v51, v53, v51
	v_add_f16_e32 v53, v43, v57
	v_sub_f16_e32 v43, v43, v57
	v_add_f16_e32 v57, v41, v62
	v_fmac_f16_e32 v41, -0.5, v54
	v_add_f16_e32 v54, v12, v15
	v_add_f16_e32 v100, v70, v14
	v_fmac_f16_e32 v70, -0.5, v56
	v_sub_f16_e32 v56, v12, v15
	v_mul_f16_e32 v48, 0xbaee, v8
	v_add_f16_e32 v12, v61, v12
	v_fmac_f16_e32 v61, -0.5, v54
	v_sub_f16_e32 v14, v14, v75
	v_fmamk_f16 v101, v56, 0x3aee, v70
	v_fmac_f16_e32 v48, -0.5, v67
	v_sub_f16_e32 v58, v80, v83
	v_fmac_f16_e32 v70, 0xbaee, v56
	v_fmamk_f16 v102, v14, 0xbaee, v61
	v_mul_f16_e32 v59, 0xbaee, v101
	v_add_f16_e32 v54, v42, v48
	v_sub_f16_e32 v42, v42, v48
	v_fmamk_f16 v48, v58, 0xbaee, v41
	v_add_f16_e32 v12, v12, v15
	v_add_f16_e32 v15, v57, v81
	v_fmac_f16_e32 v41, 0x3aee, v58
	v_fmac_f16_e32 v59, 0.5, v102
	v_add_f16_e32 v57, v85, v90
	v_add_f16_e32 v58, v13, v78
	v_fmac_f16_e32 v61, 0x3aee, v14
	v_mul_f16_e32 v56, 0xbaee, v70
	v_add_f16_e32 v14, v15, v12
	v_sub_f16_e32 v12, v15, v12
	v_add_f16_e32 v15, v48, v59
	v_sub_f16_e32 v48, v48, v59
	v_add_f16_e32 v59, v40, v85
	v_fmac_f16_e32 v40, -0.5, v57
	v_add_f16_e32 v57, v55, v49
	v_add_f16_e32 v103, v88, v13
	v_fmac_f16_e32 v88, -0.5, v58
	v_sub_f16_e32 v58, v55, v49
	v_add_f16_e32 v55, v82, v55
	v_fmac_f16_e32 v56, -0.5, v61
	v_sub_f16_e32 v60, v89, v92
	v_fmac_f16_e32 v82, -0.5, v57
	ds_read_u16 v93, v33 offset:192
	ds_read_u16 v94, v33 offset:384
	v_add_f16_e32 v49, v55, v49
	v_add_f16_e32 v55, v59, v90
	v_cndmask_b32_e64 v59, 0, 0x2d0, s0
	v_add_f16_e32 v57, v41, v56
	v_sub_f16_e32 v41, v41, v56
	v_fmamk_f16 v56, v60, 0xbaee, v40
	v_fmac_f16_e32 v40, 0x3aee, v60
	v_mov_b32_e32 v60, 0x2d0
	v_add3_u32 v107, 0, v59, v44
	v_sub_f16_e32 v13, v13, v78
	v_fmamk_f16 v104, v58, 0x3aee, v88
	v_fmac_f16_e32 v88, 0xbaee, v58
	v_mul_u32_u24_sdwa v31, v31, v60 dst_sel:DWORD dst_unused:UNUSED_PAD src0_sel:WORD_0 src1_sel:DWORD
	s_waitcnt lgkmcnt(0)
	s_barrier
	buffer_gl0_inv
	ds_write_b16 v107, v16
	ds_write_b16 v107, v47 offset:120
	ds_write_b16 v107, v46 offset:240
	;; [unrolled: 1-line block ×3, first 2 shown]
	v_mul_u32_u24_e32 v16, 0x2d0, v37
	v_lshlrev_b32_sdwa v17, v35, v38 dst_sel:DWORD dst_unused:UNUSED_PAD src0_sel:DWORD src1_sel:WORD_0
	v_add3_u32 v31, 0, v31, v39
	v_fmamk_f16 v105, v13, 0xbaee, v82
	v_mul_f16_e32 v106, 0xbaee, v104
	v_fmac_f16_e32 v82, 0x3aee, v13
	v_mul_f16_e32 v13, 0xbaee, v88
	ds_write_b16 v107, v2 offset:480
	ds_write_b16 v107, v45 offset:600
	ds_write_b16 v31, v50
	ds_write_b16 v31, v52 offset:120
	v_add3_u32 v2, 0, v16, v17
	v_mul_u32_u24_e32 v16, 0x2d0, v63
	v_lshlrev_b32_sdwa v17, v35, v65 dst_sel:DWORD dst_unused:UNUSED_PAD src0_sel:DWORD src1_sel:WORD_0
	v_fmac_f16_e32 v106, 0.5, v105
	v_fmac_f16_e32 v13, -0.5, v82
	ds_write_b16 v31, v36 offset:240
	ds_write_b16 v31, v18 offset:360
	;; [unrolled: 1-line block ×4, first 2 shown]
	ds_write_b16 v2, v10
	ds_write_b16 v2, v53 offset:120
	v_add3_u32 v6, 0, v16, v17
	v_mul_u32_u24_e32 v10, 0x2d0, v72
	v_lshlrev_b32_sdwa v16, v35, v73 dst_sel:DWORD dst_unused:UNUSED_PAD src0_sel:DWORD src1_sel:WORD_0
	v_add_f16_e32 v58, v55, v49
	v_sub_f16_e32 v49, v55, v49
	v_add_f16_e32 v55, v56, v106
	v_sub_f16_e32 v56, v56, v106
	;; [unrolled: 2-line block ×3, first 2 shown]
	v_add3_u32 v10, 0, v10, v16
	ds_write_b16 v2, v54 offset:240
	ds_write_b16 v2, v51 offset:360
	;; [unrolled: 1-line block ×4, first 2 shown]
	ds_write_b16 v6, v14
	ds_write_b16 v6, v15 offset:120
	ds_write_b16 v6, v57 offset:240
	;; [unrolled: 1-line block ×5, first 2 shown]
	ds_write_b16 v10, v58
	ds_write_b16 v10, v55 offset:120
	ds_write_b16 v10, v106 offset:240
	;; [unrolled: 1-line block ×5, first 2 shown]
	s_waitcnt lgkmcnt(0)
	s_barrier
	buffer_gl0_inv
	v_lshl_add_u32 v14, v20, 1, 0
	ds_read_u16 v45, v33
	ds_read_u16 v42, v33 offset:192
	ds_read_u16 v41, v33 offset:384
	;; [unrolled: 1-line block ×5, first 2 shown]
	v_lshl_add_u32 v15, v28, 1, 0
	v_lshl_add_u32 v16, v26, 1, 0
	ds_read_u16 v58, v33 offset:3264
	ds_read_u16 v57, v33 offset:3456
	;; [unrolled: 1-line block ×18, first 2 shown]
	ds_read_u16 v18, v16
	ds_read_u16 v40, v15
	ds_read_u16 v13, v14 offset:2688
	ds_read_u16 v43, v14 offset:1152
	ds_read_u16 v44, v34
	ds_read_u16 v48, v33 offset:5568
	s_waitcnt lgkmcnt(0)
	s_barrier
	buffer_gl0_inv
	ds_write_b16 v107, v84
	v_add_f16_e32 v63, v5, v7
	ds_write_b16 v107, v87 offset:120
	ds_write_b16 v107, v95 offset:240
	;; [unrolled: 1-line block ×3, first 2 shown]
	v_add_f16_e32 v1, v93, v5
	v_sub_f16_e32 v5, v69, v64
	ds_write_b16 v107, v3 offset:480
	ds_write_b16 v107, v0 offset:600
	v_fmac_f16_e32 v93, -0.5, v63
	v_add_f16_e32 v65, v98, v76
	v_add_f16_e32 v0, v1, v7
	;; [unrolled: 1-line block ×3, first 2 shown]
	v_mul_f16_e32 v8, -0.5, v8
	v_fmamk_f16 v3, v5, 0x3aee, v93
	v_fmac_f16_e32 v93, 0xbaee, v5
	v_add_f16_e32 v5, v9, v11
	v_add_f16_e32 v63, v0, v7
	v_sub_f16_e32 v0, v0, v7
	v_add_f16_e32 v7, v94, v9
	v_mul_f16_e32 v69, -0.5, v70
	v_fmac_f16_e32 v94, -0.5, v5
	v_sub_f16_e32 v5, v66, v79
	v_add_f16_e32 v70, v100, v75
	v_add_f16_e32 v7, v7, v11
	v_mul_f16_e32 v1, 0.5, v71
	v_mul_f16_e32 v4, -0.5, v4
	v_fmamk_f16 v64, v5, 0x3aee, v94
	v_fmac_f16_e32 v94, 0xbaee, v5
	v_add_f16_e32 v5, v80, v83
	v_add_f16_e32 v66, v7, v65
	v_sub_f16_e32 v7, v7, v65
	v_add_f16_e32 v65, v86, v80
	v_mul_f16_e32 v11, 0.5, v68
	v_fmac_f16_e32 v86, -0.5, v5
	v_sub_f16_e32 v5, v62, v81
	v_fmac_f16_e32 v8, 0x3aee, v67
	v_add_f16_e32 v65, v65, v83
	v_mul_f16_e32 v67, 0.5, v101
	v_fmac_f16_e32 v69, 0x3aee, v61
	v_fmamk_f16 v68, v5, 0x3aee, v86
	v_fmac_f16_e32 v86, 0xbaee, v5
	v_add_f16_e32 v5, v89, v92
	v_add_f16_e32 v61, v65, v70
	v_sub_f16_e32 v65, v65, v70
	v_add_f16_e32 v70, v91, v89
	v_fmac_f16_e32 v1, 0x3aee, v97
	v_fmac_f16_e32 v4, 0x3aee, v74
	;; [unrolled: 1-line block ×4, first 2 shown]
	v_fmac_f16_e32 v91, -0.5, v5
	v_sub_f16_e32 v5, v85, v90
	v_add_f16_e32 v70, v70, v92
	v_add_f16_e32 v74, v103, v78
	;; [unrolled: 1-line block ×3, first 2 shown]
	v_sub_f16_e32 v1, v3, v1
	v_add_f16_e32 v3, v93, v4
	v_sub_f16_e32 v4, v93, v4
	v_add_f16_e32 v62, v64, v11
	;; [unrolled: 2-line block ×5, first 2 shown]
	v_sub_f16_e32 v69, v86, v69
	v_fmamk_f16 v75, v5, 0x3aee, v91
	v_fmac_f16_e32 v91, 0xbaee, v5
	v_add_f16_e32 v5, v70, v74
	ds_write_b16 v31, v63
	ds_write_b16 v31, v9 offset:120
	ds_write_b16 v31, v3 offset:240
	ds_write_b16 v31, v0 offset:360
	ds_write_b16 v31, v1 offset:480
	ds_write_b16 v31, v4 offset:600
	ds_write_b16 v2, v66
	ds_write_b16 v2, v62 offset:120
	ds_write_b16 v2, v64 offset:240
	ds_write_b16 v2, v7 offset:360
	ds_write_b16 v2, v11 offset:480
	ds_write_b16 v2, v8 offset:600
	;; [unrolled: 6-line block ×3, first 2 shown]
	ds_write_b16 v10, v5
	v_lshlrev_b64 v[0:1], 2, v[20:21]
	v_mul_f16_e32 v72, 0.5, v104
	v_mul_f16_e32 v73, -0.5, v88
	v_add_nc_u32_e32 v2, 0xffffffb8, v20
	v_add_nc_u32_e32 v4, 0x2a0, v20
	v_mov_b32_e32 v61, 0x2d83
	v_add_co_u32 v0, s0, s12, v0
	v_add_co_ci_u32_e64 v1, s0, s13, v1, s0
	v_cmp_gt_u32_e64 s0, 0x48, v20
	v_fmac_f16_e32 v72, 0x3aee, v105
	v_fmac_f16_e32 v73, 0x3aee, v82
	v_mul_u32_u24_sdwa v5, v28, v61 dst_sel:DWORD dst_unused:UNUSED_PAD src0_sel:WORD_0 src1_sel:DWORD
	v_sub_f16_e32 v70, v70, v74
	v_cndmask_b32_e64 v31, v2, v27, s0
	v_mul_u32_u24_sdwa v2, v4, v61 dst_sel:DWORD dst_unused:UNUSED_PAD src0_sel:WORD_0 src1_sel:DWORD
	v_add_f16_e32 v74, v75, v72
	v_sub_f16_e32 v72, v75, v72
	v_add_f16_e32 v75, v91, v73
	v_sub_f16_e32 v73, v91, v73
	v_lshrrev_b32_e32 v21, 22, v2
	v_lshlrev_b64 v[6:7], 2, v[31:32]
	v_lshrrev_b32_e32 v11, 22, v5
	ds_write_b16 v10, v74 offset:120
	ds_write_b16 v10, v75 offset:240
	;; [unrolled: 1-line block ×5, first 2 shown]
	v_add_co_u32 v2, s0, 0x300, v0
	v_mul_lo_u16 v10, 0x168, v21
	v_add_co_ci_u32_e64 v3, s0, 0, v1, s0
	v_add_nc_u32_e32 v5, 0x360, v20
	v_add_co_u32 v8, s0, s12, v6
	v_mul_lo_u16 v6, 0x168, v11
	v_sub_nc_u16 v63, v4, v10
	v_mov_b32_e32 v64, 2
	v_add_co_ci_u32_e64 v9, s0, s13, v7, s0
	v_mul_u32_u24_sdwa v7, v5, v61 dst_sel:DWORD dst_unused:UNUSED_PAD src0_sel:WORD_0 src1_sel:DWORD
	v_add_co_u32 v10, s0, 0x800, v0
	v_sub_nc_u16 v66, v28, v6
	v_add_nc_u32_e32 v6, 0x3c0, v20
	v_add_co_ci_u32_e64 v11, s0, 0, v1, s0
	v_lshlrev_b32_sdwa v65, v64, v63 dst_sel:DWORD dst_unused:UNUSED_PAD src0_sel:DWORD src1_sel:WORD_0
	s_waitcnt lgkmcnt(0)
	s_barrier
	buffer_gl0_inv
	s_clause 0x1
	global_load_dword v27, v[0:1], off offset:1400
	global_load_dword v62, v[0:1], off offset:1784
	v_lshrrev_b32_e32 v7, 22, v7
	s_clause 0x3
	global_load_dword v67, v[2:3], off offset:1400
	global_load_dword v68, v[8:9], off offset:1400
	;; [unrolled: 1-line block ×3, first 2 shown]
	global_load_dword v65, v65, s[12:13] offset:1400
	v_mul_u32_u24_sdwa v8, v6, v61 dst_sel:DWORD dst_unused:UNUSED_PAD src0_sel:WORD_0 src1_sel:DWORD
	s_clause 0x1
	global_load_dword v70, v[0:1], off offset:1880
	global_load_dword v71, v[0:1], off offset:1496
	v_mul_lo_u16 v7, 0x168, v7
	v_mul_u32_u24_sdwa v76, v26, v61 dst_sel:DWORD dst_unused:UNUSED_PAD src0_sel:WORD_0 src1_sel:DWORD
	v_and_b32_e32 v66, 0xffff, v66
	v_lshrrev_b32_e32 v8, 22, v8
	v_cmp_lt_u32_e64 s0, 0x47, v20
	v_sub_nc_u16 v7, v5, v7
	v_lshrrev_b32_e32 v76, 22, v76
	v_lshlrev_b32_e32 v73, 2, v66
	v_mul_lo_u16 v9, 0x168, v8
	v_add_nc_u32_e32 v8, 0x4e0, v20
	v_and_b32_e32 v72, 0xffff, v7
	v_add_nc_u32_e32 v7, 0x420, v20
	v_mul_lo_u16 v76, 0x168, v76
	v_sub_nc_u16 v77, v6, v9
	v_add_nc_u32_e32 v9, 0x540, v20
	v_mul_u32_u24_sdwa v78, v8, v61 dst_sel:DWORD dst_unused:UNUSED_PAD src0_sel:WORD_0 src1_sel:DWORD
	v_mul_u32_u24_sdwa v75, v7, v61 dst_sel:DWORD dst_unused:UNUSED_PAD src0_sel:WORD_0 src1_sel:DWORD
	v_sub_nc_u16 v76, v26, v76
	v_and_b32_e32 v77, 0xffff, v77
	v_mul_u32_u24_sdwa v61, v9, v61 dst_sel:DWORD dst_unused:UNUSED_PAD src0_sel:WORD_0 src1_sel:DWORD
	v_lshrrev_b32_e32 v78, 22, v78
	v_lshrrev_b32_e32 v75, 22, v75
	v_and_b32_e32 v76, 0xffff, v76
	v_lshlrev_b32_e32 v74, 2, v72
	v_lshrrev_b32_e32 v61, 22, v61
	v_mul_lo_u16 v78, 0x168, v78
	v_mul_lo_u16 v79, 0x168, v75
	s_clause 0x1
	global_load_dword v73, v73, s[12:13] offset:1400
	global_load_dword v74, v74, s[12:13] offset:1400
	v_mul_lo_u16 v61, 0x168, v61
	v_sub_nc_u16 v78, v8, v78
	v_sub_nc_u16 v79, v7, v79
	v_lshlrev_b32_e32 v80, 2, v77
	v_lshlrev_b32_e32 v81, 2, v76
	v_sub_nc_u16 v61, v9, v61
	v_and_b32_e32 v78, 0xffff, v78
	v_lshlrev_b32_sdwa v64, v64, v79 dst_sel:DWORD dst_unused:UNUSED_PAD src0_sel:DWORD src1_sel:WORD_0
	s_clause 0x1
	global_load_dword v80, v80, s[12:13] offset:1400
	global_load_dword v81, v81, s[12:13] offset:1400
	v_and_b32_e32 v61, 0xffff, v61
	v_lshlrev_b32_e32 v82, 2, v78
	global_load_dword v64, v64, s[12:13] offset:1400
	v_lshlrev_b32_e32 v31, 1, v31
	v_mul_u32_u24_e32 v21, 0x5a0, v21
	v_lshlrev_b32_e32 v83, 2, v61
	s_clause 0x1
	global_load_dword v82, v82, s[12:13] offset:1400
	global_load_dword v83, v83, s[12:13] offset:1400
	ds_read_u16 v84, v33 offset:2880
	ds_read_u16 v85, v33 offset:3072
	;; [unrolled: 1-line block ×11, first 2 shown]
	v_lshl_add_u32 v66, v66, 1, 0
	v_lshl_add_u32 v72, v72, 1, 0
	;; [unrolled: 1-line block ×3, first 2 shown]
	s_waitcnt vmcnt(14) lgkmcnt(10)
	v_mul_f16_sdwa v88, v84, v27 dst_sel:DWORD dst_unused:UNUSED_PAD src0_sel:DWORD src1_sel:WORD_1
	s_waitcnt vmcnt(13) lgkmcnt(9)
	v_mul_f16_sdwa v92, v85, v62 dst_sel:DWORD dst_unused:UNUSED_PAD src0_sel:DWORD src1_sel:WORD_1
	v_mul_f16_sdwa v93, v59, v62 dst_sel:DWORD dst_unused:UNUSED_PAD src0_sel:DWORD src1_sel:WORD_1
	s_waitcnt vmcnt(12) lgkmcnt(8)
	v_mul_f16_sdwa v98, v86, v67 dst_sel:DWORD dst_unused:UNUSED_PAD src0_sel:DWORD src1_sel:WORD_1
	v_fmac_f16_e32 v88, v60, v27
	v_mul_f16_sdwa v60, v60, v27 dst_sel:DWORD dst_unused:UNUSED_PAD src0_sel:DWORD src1_sel:WORD_1
	v_fmac_f16_e32 v92, v59, v62
	v_fmac_f16_e32 v98, v58, v67
	s_waitcnt vmcnt(11)
	v_mul_f16_sdwa v59, v57, v68 dst_sel:DWORD dst_unused:UNUSED_PAD src0_sel:DWORD src1_sel:WORD_1
	v_fma_f16 v27, v84, v27, -v60
	v_mul_f16_sdwa v60, v58, v67 dst_sel:DWORD dst_unused:UNUSED_PAD src0_sel:DWORD src1_sel:WORD_1
	s_waitcnt lgkmcnt(6)
	v_mul_f16_sdwa v58, v89, v68 dst_sel:DWORD dst_unused:UNUSED_PAD src0_sel:DWORD src1_sel:WORD_1
	v_fma_f16 v84, v85, v62, -v93
	s_waitcnt vmcnt(7)
	v_mul_f16_sdwa v62, v56, v71 dst_sel:DWORD dst_unused:UNUSED_PAD src0_sel:DWORD src1_sel:WORD_1
	v_fma_f16 v67, v86, v67, -v60
	s_waitcnt lgkmcnt(5)
	v_mul_f16_sdwa v60, v90, v71 dst_sel:DWORD dst_unused:UNUSED_PAD src0_sel:DWORD src1_sel:WORD_1
	v_fmac_f16_e32 v58, v57, v68
	s_waitcnt lgkmcnt(4)
	v_mul_f16_sdwa v57, v91, v70 dst_sel:DWORD dst_unused:UNUSED_PAD src0_sel:DWORD src1_sel:WORD_1
	v_fma_f16 v68, v89, v68, -v59
	ds_read_u16 v59, v33 offset:4800
	v_fmac_f16_e32 v60, v56, v71
	v_mul_f16_sdwa v56, v55, v70 dst_sel:DWORD dst_unused:UNUSED_PAD src0_sel:DWORD src1_sel:WORD_1
	v_fma_f16 v71, v90, v71, -v62
	v_fmac_f16_e32 v57, v55, v70
	s_waitcnt lgkmcnt(4)
	v_mul_f16_sdwa v55, v94, v69 dst_sel:DWORD dst_unused:UNUSED_PAD src0_sel:DWORD src1_sel:WORD_1
	v_mul_f16_sdwa v62, v54, v69 dst_sel:DWORD dst_unused:UNUSED_PAD src0_sel:DWORD src1_sel:WORD_1
	v_fma_f16 v70, v91, v70, -v56
	s_waitcnt lgkmcnt(3)
	v_mul_f16_sdwa v56, v95, v65 dst_sel:DWORD dst_unused:UNUSED_PAD src0_sel:DWORD src1_sel:WORD_1
	v_fmac_f16_e32 v55, v54, v69
	v_fma_f16 v69, v94, v69, -v62
	ds_read_u16 v62, v33 offset:4992
	v_mul_f16_sdwa v54, v53, v65 dst_sel:DWORD dst_unused:UNUSED_PAD src0_sel:DWORD src1_sel:WORD_1
	v_fmac_f16_e32 v56, v53, v65
	ds_read_u16 v53, v33 offset:5184
	s_waitcnt vmcnt(6)
	v_mul_f16_sdwa v85, v49, v73 dst_sel:DWORD dst_unused:UNUSED_PAD src0_sel:DWORD src1_sel:WORD_1
	s_waitcnt vmcnt(5) lgkmcnt(3)
	v_mul_f16_sdwa v86, v97, v74 dst_sel:DWORD dst_unused:UNUSED_PAD src0_sel:DWORD src1_sel:WORD_1
	v_fma_f16 v65, v95, v65, -v54
	ds_read_u16 v90, v33 offset:5376
	ds_read_u16 v91, v33 offset:5568
	;; [unrolled: 1-line block ×4, first 2 shown]
	ds_read_u16 v95, v34
	v_mul_f16_sdwa v54, v96, v73 dst_sel:DWORD dst_unused:UNUSED_PAD src0_sel:DWORD src1_sel:WORD_1
	v_mul_f16_sdwa v89, v47, v74 dst_sel:DWORD dst_unused:UNUSED_PAD src0_sel:DWORD src1_sel:WORD_1
	s_waitcnt vmcnt(4) lgkmcnt(7)
	v_mul_f16_sdwa v99, v59, v80 dst_sel:DWORD dst_unused:UNUSED_PAD src0_sel:DWORD src1_sel:WORD_1
	v_fmac_f16_e32 v86, v47, v74
	v_mul_f16_sdwa v47, v52, v80 dst_sel:DWORD dst_unused:UNUSED_PAD src0_sel:DWORD src1_sel:WORD_1
	v_fmac_f16_e32 v54, v49, v73
	v_fma_f16 v73, v96, v73, -v85
	v_fma_f16 v74, v97, v74, -v89
	s_waitcnt vmcnt(3)
	v_mul_f16_sdwa v89, v50, v81 dst_sel:DWORD dst_unused:UNUSED_PAD src0_sel:DWORD src1_sel:WORD_1
	v_fmac_f16_e32 v99, v52, v80
	s_waitcnt vmcnt(2)
	v_mul_f16_sdwa v52, v51, v64 dst_sel:DWORD dst_unused:UNUSED_PAD src0_sel:DWORD src1_sel:WORD_1
	v_fma_f16 v80, v59, v80, -v47
	s_waitcnt lgkmcnt(6)
	v_mul_f16_sdwa v49, v62, v64 dst_sel:DWORD dst_unused:UNUSED_PAD src0_sel:DWORD src1_sel:WORD_1
	s_waitcnt lgkmcnt(5)
	v_mul_f16_sdwa v85, v53, v81 dst_sel:DWORD dst_unused:UNUSED_PAD src0_sel:DWORD src1_sel:WORD_1
	s_waitcnt vmcnt(1) lgkmcnt(4)
	v_mul_f16_sdwa v47, v90, v82 dst_sel:DWORD dst_unused:UNUSED_PAD src0_sel:DWORD src1_sel:WORD_1
	v_fmac_f16_e32 v49, v51, v64
	s_waitcnt vmcnt(0) lgkmcnt(3)
	v_mul_f16_sdwa v51, v91, v83 dst_sel:DWORD dst_unused:UNUSED_PAD src0_sel:DWORD src1_sel:WORD_1
	v_fma_f16 v64, v62, v64, -v52
	v_fmac_f16_e32 v85, v50, v81
	v_fma_f16 v81, v53, v81, -v89
	v_sub_f16_e32 v53, v45, v88
	v_mul_f16_sdwa v52, v48, v83 dst_sel:DWORD dst_unused:UNUSED_PAD src0_sel:DWORD src1_sel:WORD_1
	v_fmac_f16_e32 v51, v48, v83
	v_sub_f16_e32 v48, v42, v92
	v_mul_f16_sdwa v50, v46, v82 dst_sel:DWORD dst_unused:UNUSED_PAD src0_sel:DWORD src1_sel:WORD_1
	v_fma_f16 v45, v45, 2.0, -v53
	v_fmac_f16_e32 v47, v46, v82
	v_fma_f16 v83, v91, v83, -v52
	v_fma_f16 v42, v42, 2.0, -v48
	v_fma_f16 v82, v90, v82, -v50
	ds_read_u16 v46, v33
	ds_read_u16 v88, v33 offset:192
	ds_read_u16 v89, v33 offset:384
	;; [unrolled: 1-line block ×7, first 2 shown]
	ds_read_u16 v92, v16
	ds_read_u16 v101, v15
	ds_read_u16 v102, v14 offset:2688
	s_waitcnt lgkmcnt(0)
	s_barrier
	buffer_gl0_inv
	ds_write_b16 v33, v45
	ds_write_b16 v33, v53 offset:720
	ds_write_b16 v33, v42 offset:192
	v_sub_f16_e32 v42, v41, v98
	v_cndmask_b32_e64 v45, 0, 0x5a0, s0
	v_sub_f16_e32 v50, v39, v58
	v_sub_f16_e32 v52, v44, v60
	ds_write_b16 v33, v48 offset:912
	v_fma_f16 v41, v41, 2.0, -v42
	v_add3_u32 v31, 0, v45, v31
	v_fma_f16 v39, v39, 2.0, -v50
	ds_write_b16 v33, v42 offset:1104
	v_sub_f16_e32 v42, v37, v57
	ds_write_b16 v33, v41 offset:384
	v_fma_f16 v41, v44, 2.0, -v52
	ds_write_b16 v31, v39
	ds_write_b16 v31, v50 offset:720
	ds_write_b16 v14, v41 offset:1488
	;; [unrolled: 1-line block ×3, first 2 shown]
	v_fma_f16 v37, v37, 2.0, -v42
	v_sub_f16_e32 v39, v43, v55
	v_lshlrev_b32_sdwa v41, v35, v63 dst_sel:DWORD dst_unused:UNUSED_PAD src0_sel:DWORD src1_sel:WORD_0
	v_sub_f16_e32 v44, v19, v56
	ds_write_b16 v14, v42 offset:2400
	ds_write_b16 v14, v37 offset:1680
	v_fma_f16 v37, v43, 2.0, -v39
	v_add3_u32 v63, 0, v21, v41
	v_fma_f16 v19, v19, 2.0, -v44
	v_sub_f16_e32 v21, v40, v54
	ds_write_b16 v14, v37 offset:1872
	v_sub_f16_e32 v37, v38, v86
	ds_write_b16 v14, v39 offset:2592
	ds_write_b16 v63, v19
	v_sub_f16_e32 v39, v36, v99
	v_fma_f16 v19, v40, 2.0, -v21
	v_fma_f16 v38, v38, 2.0, -v37
	ds_write_b16 v63, v44 offset:720
	ds_write_b16 v66, v19 offset:2880
	;; [unrolled: 1-line block ×4, first 2 shown]
	v_fma_f16 v19, v36, 2.0, -v39
	v_lshlrev_b32_sdwa v21, v35, v79 dst_sel:DWORD dst_unused:UNUSED_PAD src0_sel:DWORD src1_sel:WORD_0
	v_mul_u32_u24_e32 v35, 0x5a0, v75
	v_sub_f16_e32 v36, v17, v49
	v_lshl_add_u32 v75, v77, 1, 0
	ds_write_b16 v72, v37 offset:3600
	v_sub_f16_e32 v37, v18, v85
	v_add3_u32 v35, 0, v35, v21
	v_fma_f16 v17, v17, 2.0, -v36
	ds_write_b16 v75, v19 offset:2880
	ds_write_b16 v75, v39 offset:3600
	v_sub_f16_e32 v19, v13, v51
	v_fma_f16 v18, v18, 2.0, -v37
	ds_write_b16 v35, v36 offset:720
	ds_write_b16 v35, v17
	v_sub_f16_e32 v17, v12, v47
	v_lshl_add_u32 v36, v78, 1, 0
	ds_write_b16 v76, v18 offset:4320
	v_sub_f16_e32 v18, v46, v27
	v_fma_f16 v13, v13, 2.0, -v19
	v_fma_f16 v12, v12, 2.0, -v17
	v_lshl_add_u32 v77, v61, 1, 0
	ds_write_b16 v76, v37 offset:5040
	v_fma_f16 v78, v46, 2.0, -v18
	ds_write_b16 v36, v12 offset:4320
	ds_write_b16 v36, v17 offset:5040
	;; [unrolled: 1-line block ×4, first 2 shown]
	v_sub_f16_e32 v12, v88, v84
	v_sub_f16_e32 v13, v89, v67
	s_waitcnt lgkmcnt(0)
	s_barrier
	buffer_gl0_inv
	ds_read_u16 v48, v33
	ds_read_u16 v46, v33 offset:192
	ds_read_u16 v44, v33 offset:384
	;; [unrolled: 1-line block ×23, first 2 shown]
	ds_read_u16 v38, v16
	ds_read_u16 v42, v15
	ds_read_u16 v39, v14 offset:2688
	ds_read_u16 v45, v14 offset:1152
	ds_read_u16 v47, v34
	ds_read_u16 v51, v33 offset:5568
	s_waitcnt lgkmcnt(0)
	s_barrier
	buffer_gl0_inv
	v_fma_f16 v17, v88, 2.0, -v12
	ds_write_b16 v33, v78
	ds_write_b16 v33, v18 offset:720
	v_sub_f16_e32 v18, v90, v68
	v_fma_f16 v67, v89, 2.0, -v13
	ds_write_b16 v33, v17 offset:192
	ds_write_b16 v33, v12 offset:912
	v_sub_f16_e32 v12, v95, v71
	v_fma_f16 v17, v90, 2.0, -v18
	ds_write_b16 v33, v67 offset:384
	ds_write_b16 v33, v13 offset:1104
	v_sub_f16_e32 v13, v91, v70
	ds_write_b16 v31, v18 offset:720
	v_fma_f16 v67, v95, 2.0, -v12
	ds_write_b16 v31, v17
	v_sub_f16_e32 v17, v94, v69
	v_fma_f16 v18, v91, 2.0, -v13
	ds_write_b16 v14, v67 offset:1488
	ds_write_b16 v14, v12 offset:2208
	v_sub_f16_e32 v31, v93, v65
	v_fma_f16 v12, v94, 2.0, -v17
	ds_write_b16 v14, v18 offset:1680
	ds_write_b16 v14, v13 offset:2400
	v_sub_f16_e32 v13, v101, v73
	v_sub_f16_e32 v18, v96, v74
	;; [unrolled: 1-line block ×3, first 2 shown]
	ds_write_b16 v14, v12 offset:1872
	v_fma_f16 v12, v93, 2.0, -v31
	ds_write_b16 v14, v17 offset:2592
	v_fma_f16 v17, v101, 2.0, -v13
	ds_write_b16 v63, v12
	v_fma_f16 v12, v96, 2.0, -v18
	ds_write_b16 v63, v31 offset:720
	ds_write_b16 v66, v17 offset:2880
	v_fma_f16 v17, v87, 2.0, -v65
	ds_write_b16 v66, v13 offset:3600
	ds_write_b16 v72, v12 offset:2880
	;; [unrolled: 1-line block ×3, first 2 shown]
	v_sub_f16_e32 v12, v97, v64
	v_sub_f16_e32 v13, v92, v81
	ds_write_b16 v75, v17 offset:2880
	v_sub_f16_e32 v17, v100, v82
	v_sub_f16_e32 v18, v102, v83
	v_fma_f16 v31, v97, 2.0, -v12
	v_fma_f16 v63, v92, 2.0, -v13
	ds_write_b16 v75, v65 offset:3600
	v_fma_f16 v64, v100, 2.0, -v17
	v_fma_f16 v65, v102, 2.0, -v18
	ds_write_b16 v35, v31
	ds_write_b16 v35, v12 offset:720
	ds_write_b16 v76, v63 offset:4320
	;; [unrolled: 1-line block ×7, first 2 shown]
	v_lshlrev_b64 v[12:13], 2, v[29:30]
	v_subrev_nc_u32_e32 v29, 48, v20
	v_mov_b32_e32 v30, v32
	s_waitcnt lgkmcnt(0)
	s_barrier
	buffer_gl0_inv
	v_add_co_u32 v17, s0, s12, v12
	v_add_co_ci_u32_e64 v18, s0, s13, v13, s0
	s_clause 0x1
	global_load_dword v67, v[10:11], off offset:792
	global_load_dword v68, v[10:11], off offset:1176
	v_add_co_u32 v12, s0, 0x800, v17
	v_add_co_ci_u32_e64 v13, s0, 0, v18, s0
	v_cmp_gt_u32_e64 s0, 48, v20
	s_clause 0x2
	global_load_dword v69, v[10:11], off offset:1560
	global_load_dword v70, v[10:11], off offset:1944
	;; [unrolled: 1-line block ×3, first 2 shown]
	v_add_nc_u32_e32 v65, 0x210, v20
	v_mov_b32_e32 v66, v32
	v_cndmask_b32_e64 v31, v29, v4, s0
	v_add_nc_u32_e32 v29, 0x240, v20
	v_add_co_u32 v12, s0, 0x1000, v0
	v_add_co_ci_u32_e64 v13, s0, 0, v1, s0
	v_lshlrev_b64 v[29:30], 2, v[29:30]
	v_lshlrev_b64 v[63:64], 2, v[31:32]
	v_lshlrev_b32_e32 v31, 1, v31
	global_load_dword v72, v[12:13], off offset:664
	v_add_co_u32 v35, s0, s12, v29
	v_add_co_ci_u32_e64 v36, s0, s13, v30, s0
	v_add_co_u32 v63, s0, s12, v63
	v_add_co_ci_u32_e64 v64, s0, s13, v64, s0
	;; [unrolled: 2-line block ×4, first 2 shown]
	s_clause 0x1
	global_load_dword v73, v[29:30], off offset:792
	global_load_dword v74, v[63:64], off offset:792
	v_add_nc_u32_e32 v29, 0x270, v20
	v_mov_b32_e32 v30, v32
	v_lshlrev_b64 v[63:64], 2, v[65:66]
	s_clause 0x2
	global_load_dword v65, v[10:11], off offset:1752
	global_load_dword v66, v[10:11], off offset:1368
	;; [unrolled: 1-line block ×3, first 2 shown]
	v_lshlrev_b64 v[10:11], 2, v[29:30]
	v_add_co_u32 v29, s0, s12, v63
	v_add_co_ci_u32_e64 v30, s0, s13, v64, s0
	v_add_co_u32 v63, s0, s12, v10
	v_add_co_ci_u32_e64 v64, s0, s13, v11, s0
	;; [unrolled: 2-line block ×4, first 2 shown]
	s_clause 0x3
	global_load_dword v63, v[12:13], off offset:88
	global_load_dword v10, v[10:11], off offset:792
	;; [unrolled: 1-line block ×4, first 2 shown]
	ds_read_u16 v30, v33 offset:2880
	ds_read_u16 v64, v33 offset:3072
	;; [unrolled: 1-line block ×11, first 2 shown]
	v_cmp_lt_u32_e64 s0, 47, v20
	s_waitcnt vmcnt(14) lgkmcnt(10)
	v_mul_f16_sdwa v80, v30, v67 dst_sel:DWORD dst_unused:UNUSED_PAD src0_sel:DWORD src1_sel:WORD_1
	v_mul_f16_sdwa v82, v79, v67 dst_sel:DWORD dst_unused:UNUSED_PAD src0_sel:DWORD src1_sel:WORD_1
	s_waitcnt vmcnt(13)
	v_mul_f16_sdwa v84, v62, v68 dst_sel:DWORD dst_unused:UNUSED_PAD src0_sel:DWORD src1_sel:WORD_1
	v_fmac_f16_e32 v80, v79, v67
	s_waitcnt lgkmcnt(9)
	v_mul_f16_sdwa v79, v64, v68 dst_sel:DWORD dst_unused:UNUSED_PAD src0_sel:DWORD src1_sel:WORD_1
	s_waitcnt vmcnt(12) lgkmcnt(8)
	v_mul_f16_sdwa v89, v76, v69 dst_sel:DWORD dst_unused:UNUSED_PAD src0_sel:DWORD src1_sel:WORD_1
	v_fma_f16 v30, v30, v67, -v82
	s_waitcnt vmcnt(11)
	v_mul_f16_sdwa v67, v60, v70 dst_sel:DWORD dst_unused:UNUSED_PAD src0_sel:DWORD src1_sel:WORD_1
	v_fmac_f16_e32 v79, v62, v68
	v_fma_f16 v62, v64, v68, -v84
	v_mul_f16_sdwa v64, v61, v69 dst_sel:DWORD dst_unused:UNUSED_PAD src0_sel:DWORD src1_sel:WORD_1
	s_waitcnt vmcnt(10) lgkmcnt(5)
	v_mul_f16_sdwa v68, v81, v71 dst_sel:DWORD dst_unused:UNUSED_PAD src0_sel:DWORD src1_sel:WORD_1
	v_fmac_f16_e32 v89, v61, v69
	v_mul_f16_sdwa v61, v78, v70 dst_sel:DWORD dst_unused:UNUSED_PAD src0_sel:DWORD src1_sel:WORD_1
	v_fma_f16 v67, v78, v70, -v67
	v_fma_f16 v64, v76, v69, -v64
	v_mul_f16_sdwa v69, v59, v71 dst_sel:DWORD dst_unused:UNUSED_PAD src0_sel:DWORD src1_sel:WORD_1
	v_fmac_f16_e32 v68, v59, v71
	s_waitcnt vmcnt(9) lgkmcnt(4)
	v_mul_f16_sdwa v59, v83, v72 dst_sel:DWORD dst_unused:UNUSED_PAD src0_sel:DWORD src1_sel:WORD_1
	v_fmac_f16_e32 v61, v60, v70
	v_mul_f16_sdwa v60, v58, v72 dst_sel:DWORD dst_unused:UNUSED_PAD src0_sel:DWORD src1_sel:WORD_1
	v_fma_f16 v69, v81, v71, -v69
	ds_read_u16 v78, v33 offset:5184
	v_fmac_f16_e32 v59, v58, v72
	ds_read_u16 v58, v33 offset:4800
	v_fma_f16 v72, v83, v72, -v60
	s_waitcnt vmcnt(8) lgkmcnt(5)
	v_mul_f16_sdwa v70, v85, v73 dst_sel:DWORD dst_unused:UNUSED_PAD src0_sel:DWORD src1_sel:WORD_1
	v_mul_f16_sdwa v71, v57, v73 dst_sel:DWORD dst_unused:UNUSED_PAD src0_sel:DWORD src1_sel:WORD_1
	s_waitcnt vmcnt(7)
	v_mul_f16_sdwa v60, v56, v74 dst_sel:DWORD dst_unused:UNUSED_PAD src0_sel:DWORD src1_sel:WORD_1
	s_waitcnt vmcnt(5)
	v_mul_f16_sdwa v81, v50, v66 dst_sel:DWORD dst_unused:UNUSED_PAD src0_sel:DWORD src1_sel:WORD_1
	v_fmac_f16_e32 v70, v57, v73
	v_fma_f16 v71, v85, v73, -v71
	ds_read_u16 v73, v33 offset:4992
	s_waitcnt lgkmcnt(5)
	v_mul_f16_sdwa v57, v86, v74 dst_sel:DWORD dst_unused:UNUSED_PAD src0_sel:DWORD src1_sel:WORD_1
	s_waitcnt vmcnt(4) lgkmcnt(4)
	v_mul_f16_sdwa v76, v87, v75 dst_sel:DWORD dst_unused:UNUSED_PAD src0_sel:DWORD src1_sel:WORD_1
	v_fmac_f16_e32 v57, v56, v74
	v_fma_f16 v74, v86, v74, -v60
	ds_read_u16 v60, v33 offset:5376
	ds_read_u16 v82, v33 offset:5568
	;; [unrolled: 1-line block ×4, first 2 shown]
	ds_read_u16 v85, v34
	v_mul_f16_sdwa v56, v55, v75 dst_sel:DWORD dst_unused:UNUSED_PAD src0_sel:DWORD src1_sel:WORD_1
	v_fmac_f16_e32 v76, v55, v75
	s_waitcnt lgkmcnt(8)
	v_mul_f16_sdwa v55, v88, v66 dst_sel:DWORD dst_unused:UNUSED_PAD src0_sel:DWORD src1_sel:WORD_1
	s_waitcnt lgkmcnt(6)
	v_mul_f16_sdwa v86, v58, v65 dst_sel:DWORD dst_unused:UNUSED_PAD src0_sel:DWORD src1_sel:WORD_1
	v_fma_f16 v75, v87, v75, -v56
	v_fmac_f16_e32 v55, v50, v66
	v_mul_f16_sdwa v50, v54, v65 dst_sel:DWORD dst_unused:UNUSED_PAD src0_sel:DWORD src1_sel:WORD_1
	v_fma_f16 v66, v88, v66, -v81
	v_fmac_f16_e32 v86, v54, v65
	s_waitcnt vmcnt(3) lgkmcnt(5)
	v_mul_f16_sdwa v54, v73, v63 dst_sel:DWORD dst_unused:UNUSED_PAD src0_sel:DWORD src1_sel:WORD_1
	v_mul_f16_sdwa v56, v53, v63 dst_sel:DWORD dst_unused:UNUSED_PAD src0_sel:DWORD src1_sel:WORD_1
	s_waitcnt vmcnt(0)
	v_mul_f16_sdwa v81, v78, v29 dst_sel:DWORD dst_unused:UNUSED_PAD src0_sel:DWORD src1_sel:WORD_1
	v_fma_f16 v65, v58, v65, -v50
	v_mul_f16_sdwa v50, v52, v29 dst_sel:DWORD dst_unused:UNUSED_PAD src0_sel:DWORD src1_sel:WORD_1
	v_fmac_f16_e32 v54, v53, v63
	v_fma_f16 v63, v73, v63, -v56
	v_fmac_f16_e32 v81, v52, v29
	s_waitcnt lgkmcnt(4)
	v_mul_f16_sdwa v52, v60, v10 dst_sel:DWORD dst_unused:UNUSED_PAD src0_sel:DWORD src1_sel:WORD_1
	v_fma_f16 v29, v78, v29, -v50
	v_mul_f16_sdwa v50, v49, v10 dst_sel:DWORD dst_unused:UNUSED_PAD src0_sel:DWORD src1_sel:WORD_1
	s_waitcnt lgkmcnt(3)
	v_mul_f16_sdwa v53, v82, v11 dst_sel:DWORD dst_unused:UNUSED_PAD src0_sel:DWORD src1_sel:WORD_1
	v_mul_f16_sdwa v56, v51, v11 dst_sel:DWORD dst_unused:UNUSED_PAD src0_sel:DWORD src1_sel:WORD_1
	v_sub_f16_e32 v58, v48, v80
	v_fmac_f16_e32 v52, v49, v10
	v_fma_f16 v10, v60, v10, -v50
	v_fmac_f16_e32 v53, v51, v11
	v_fma_f16 v73, v82, v11, -v56
	v_fma_f16 v11, v48, 2.0, -v58
	v_sub_f16_e32 v49, v46, v79
	v_sub_f16_e32 v50, v44, v89
	ds_read_u16 v48, v33
	ds_read_u16 v78, v33 offset:192
	ds_read_u16 v80, v33 offset:384
	;; [unrolled: 1-line block ×7, first 2 shown]
	ds_read_u16 v92, v16
	ds_read_u16 v93, v15
	ds_read_u16 v94, v14 offset:2688
	s_waitcnt lgkmcnt(0)
	s_barrier
	buffer_gl0_inv
	ds_write_b16 v33, v11
	v_fma_f16 v11, v46, 2.0, -v49
	v_sub_f16_e32 v46, v43, v61
	v_fma_f16 v44, v44, 2.0, -v50
	v_sub_f16_e32 v51, v47, v68
	ds_write_b16 v33, v58 offset:1440
	ds_write_b16 v33, v11 offset:192
	ds_write_b16 v33, v49 offset:1632
	v_fma_f16 v11, v43, 2.0, -v46
	ds_write_b16 v33, v44 offset:384
	v_sub_f16_e32 v44, v41, v59
	v_fma_f16 v43, v47, 2.0, -v51
	ds_write_b16 v33, v50 offset:1824
	ds_write_b16 v33, v11 offset:576
	;; [unrolled: 1-line block ×3, first 2 shown]
	ds_write_b16 v34, v43
	ds_write_b16 v34, v51 offset:1440
	v_fma_f16 v11, v41, 2.0, -v44
	v_sub_f16_e32 v41, v45, v70
	v_cndmask_b32_e64 v43, 0, 0xb40, s0
	ds_write_b16 v33, v44 offset:2400
	v_sub_f16_e32 v68, v48, v30
	ds_write_b16 v33, v11 offset:960
	v_sub_f16_e32 v11, v37, v57
	v_fma_f16 v44, v45, 2.0, -v41
	v_add3_u32 v31, 0, v43, v31
	v_sub_f16_e32 v43, v42, v76
	v_sub_f16_e32 v45, v40, v55
	v_fma_f16 v37, v37, 2.0, -v11
	ds_write_b16 v14, v44 offset:1152
	ds_write_b16 v14, v41 offset:2592
	ds_write_b16 v31, v11 offset:1440
	v_fma_f16 v41, v42, 2.0, -v43
	v_sub_f16_e32 v11, v19, v86
	ds_write_b16 v31, v37
	v_fma_f16 v37, v40, 2.0, -v45
	v_sub_f16_e32 v30, v21, v54
	ds_write_b16 v14, v41 offset:2976
	ds_write_b16 v14, v43 offset:4416
	;; [unrolled: 1-line block ×4, first 2 shown]
	v_sub_f16_e32 v37, v38, v81
	v_sub_f16_e32 v41, v39, v53
	;; [unrolled: 1-line block ×3, first 2 shown]
	v_fma_f16 v19, v19, 2.0, -v11
	v_fma_f16 v21, v21, 2.0, -v30
	;; [unrolled: 1-line block ×6, first 2 shown]
	ds_write_b16 v14, v19 offset:3360
	ds_write_b16 v14, v11 offset:4800
	;; [unrolled: 1-line block ×10, first 2 shown]
	s_waitcnt lgkmcnt(0)
	s_barrier
	buffer_gl0_inv
	ds_read_u16 v11, v33
	ds_read_u16 v19, v33 offset:192
	ds_read_u16 v21, v33 offset:384
	;; [unrolled: 1-line block ×23, first 2 shown]
	ds_read_u16 v46, v16
	ds_read_u16 v42, v15
	ds_read_u16 v47, v14 offset:2688
	v_sub_f16_e32 v27, v78, v62
	v_sub_f16_e32 v64, v80, v64
	ds_read_u16 v45, v14 offset:1152
	ds_read_u16 v43, v34
	ds_read_u16 v62, v33 offset:5568
	s_waitcnt lgkmcnt(0)
	s_barrier
	buffer_gl0_inv
	v_fma_f16 v76, v78, 2.0, -v27
	ds_write_b16 v33, v70
	ds_write_b16 v33, v68 offset:1440
	v_sub_f16_e32 v67, v82, v67
	v_fma_f16 v68, v80, 2.0, -v64
	ds_write_b16 v33, v27 offset:1632
	v_sub_f16_e32 v27, v85, v69
	v_sub_f16_e32 v70, v87, v72
	ds_write_b16 v33, v76 offset:192
	v_fma_f16 v69, v82, 2.0, -v67
	ds_write_b16 v33, v68 offset:384
	ds_write_b16 v33, v64 offset:1824
	v_fma_f16 v64, v85, 2.0, -v27
	v_fma_f16 v68, v87, 2.0, -v70
	ds_write_b16 v33, v67 offset:2016
	v_sub_f16_e32 v67, v84, v71
	ds_write_b16 v33, v69 offset:576
	ds_write_b16 v34, v64
	ds_write_b16 v34, v27 offset:1440
	ds_write_b16 v33, v68 offset:960
	v_sub_f16_e32 v27, v83, v74
	v_sub_f16_e32 v68, v93, v75
	v_fma_f16 v64, v84, 2.0, -v67
	v_sub_f16_e32 v66, v88, v66
	ds_write_b16 v33, v70 offset:2400
	v_fma_f16 v69, v83, 2.0, -v27
	ds_write_b16 v14, v67 offset:2592
	ds_write_b16 v14, v64 offset:1152
	v_fma_f16 v64, v93, 2.0, -v68
	v_fma_f16 v67, v88, 2.0, -v66
	ds_write_b16 v31, v69
	ds_write_b16 v31, v27 offset:1440
	ds_write_b16 v14, v64 offset:2976
	;; [unrolled: 1-line block ×4, first 2 shown]
	v_sub_f16_e32 v27, v77, v65
	v_sub_f16_e32 v31, v90, v63
	;; [unrolled: 1-line block ×5, first 2 shown]
	v_fma_f16 v64, v77, 2.0, -v27
	v_fma_f16 v65, v90, 2.0, -v31
	;; [unrolled: 1-line block ×5, first 2 shown]
	ds_write_b16 v14, v66 offset:4608
	ds_write_b16 v14, v64 offset:3360
	;; [unrolled: 1-line block ×11, first 2 shown]
	s_waitcnt lgkmcnt(0)
	s_barrier
	buffer_gl0_inv
	s_and_saveexec_b32 s0, vcc_lo
	s_cbranch_execz .LBB0_15
; %bb.14:
	v_mov_b32_e32 v10, v32
	v_add_co_u32 v31, vcc_lo, 0x480, v0
	v_add_co_ci_u32_e32 v69, vcc_lo, 0, v1, vcc_lo
	v_lshlrev_b64 v[63:64], 2, v[9:10]
	v_add_co_u32 v70, vcc_lo, 0x780, v0
	v_add_co_ci_u32_e32 v71, vcc_lo, 0, v1, vcc_lo
	v_mov_b32_e32 v9, v32
	v_add_co_u32 v10, vcc_lo, s12, v63
	v_add_co_ci_u32_e32 v27, vcc_lo, s13, v64, vcc_lo
	v_lshlrev_b64 v[8:9], 2, v[8:9]
	v_add_co_u32 v63, vcc_lo, 0x1000, v10
	v_add_co_ci_u32_e32 v64, vcc_lo, 0, v27, vcc_lo
	v_mov_b32_e32 v27, v32
	v_add_co_u32 v8, vcc_lo, s12, v8
	v_add_co_ci_u32_e32 v29, vcc_lo, s13, v9, vcc_lo
	v_lshlrev_b64 v[9:10], 2, v[26:27]
	v_add_co_u32 v26, vcc_lo, 0x1000, v8
	v_mov_b32_e32 v8, v32
	v_add_co_ci_u32_e32 v27, vcc_lo, 0, v29, vcc_lo
	v_add_co_u32 v29, vcc_lo, s12, v9
	v_add_co_ci_u32_e32 v10, vcc_lo, s13, v10, vcc_lo
	v_lshlrev_b64 v[8:9], 2, v[7:8]
	v_add_co_u32 v65, vcc_lo, 0x1000, v29
	v_mov_b32_e32 v7, v32
	v_add_co_ci_u32_e32 v66, vcc_lo, 0, v10, vcc_lo
	;; [unrolled: 6-line block ×4, first 2 shown]
	v_add_co_u32 v67, vcc_lo, s12, v5
	v_mov_b32_e32 v5, v32
	v_add_co_ci_u32_e32 v6, vcc_lo, s13, v6, vcc_lo
	v_lshlrev_b64 v[28:29], 2, v[28:29]
	v_add_co_u32 v67, vcc_lo, 0x1000, v67
	v_lshlrev_b64 v[4:5], 2, v[4:5]
	v_add_co_ci_u32_e32 v68, vcc_lo, 0, v6, vcc_lo
	v_add_co_u32 v6, vcc_lo, s12, v28
	v_add_co_ci_u32_e32 v28, vcc_lo, s13, v29, vcc_lo
	v_add_co_u32 v29, vcc_lo, s12, v4
	;; [unrolled: 2-line block ×4, first 2 shown]
	v_add_co_ci_u32_e32 v29, vcc_lo, 0, v72, vcc_lo
	s_clause 0x7
	global_load_dword v63, v[63:64], off offset:1624
	global_load_dword v26, v[26:27], off offset:1624
	;; [unrolled: 1-line block ×8, first 2 shown]
	v_add_co_u32 v4, vcc_lo, 0x1000, v35
	v_add_co_ci_u32_e32 v5, vcc_lo, 0, v36, vcc_lo
	v_add_co_u32 v6, vcc_lo, 0x1000, v70
	v_add_co_ci_u32_e32 v7, vcc_lo, 0, v71, vcc_lo
	;; [unrolled: 2-line block ×7, first 2 shown]
	s_clause 0x6
	global_load_dword v35, v[4:5], off offset:1624
	global_load_dword v36, v[6:7], off offset:1624
	;; [unrolled: 1-line block ×7, first 2 shown]
	v_add_nc_u32_e32 v5, 0x60, v20
	v_mul_lo_u32 v2, s3, v24
	v_mul_lo_u32 v3, s2, v25
	v_mad_u64_u32 v[0:1], null, s2, v24, 0
	v_lshrrev_b32_e32 v4, 5, v20
	v_lshrrev_b32_e32 v8, 5, v5
	v_add_nc_u32_e32 v6, 0xc0, v20
	ds_read_u16 v24, v14 offset:1344
	ds_read_u16 v25, v14 offset:1152
	ds_read_u16 v34, v34
	ds_read_u16 v70, v33 offset:5568
	ds_read_u16 v71, v33 offset:5376
	;; [unrolled: 1-line block ×5, first 2 shown]
	ds_read_u16 v75, v16
	ds_read_u16 v76, v15
	ds_read_u16 v77, v14 offset:2688
	ds_read_u16 v78, v14 offset:2496
	;; [unrolled: 1-line block ×19, first 2 shown]
	ds_read_u16 v33, v33
	v_add_nc_u32_e32 v7, 0x120, v20
	v_mul_hi_u32 v4, 0x5b05b06, v4
	v_mul_hi_u32 v8, 0x5b05b06, v8
	v_add3_u32 v1, v1, v3, v2
	v_lshrrev_b32_e32 v9, 5, v6
	v_lshlrev_b64 v[2:3], 2, v[22:23]
	v_lshrrev_b32_e32 v12, 5, v7
	v_add_nc_u32_e32 v96, 0x180, v20
	v_lshlrev_b64 v[0:1], 2, v[0:1]
	v_mul_hi_u32 v14, 0x5b05b06, v9
	v_mul_u32_u24_e32 v4, 0x5a0, v4
	v_mul_u32_u24_e32 v9, 0x5a0, v8
	v_mul_hi_u32 v16, 0x5b05b06, v12
	v_lshrrev_b32_e32 v13, 5, v96
	v_add_co_u32 v0, vcc_lo, s10, v0
	v_sub_nc_u32_e32 v4, v20, v4
	v_sub_nc_u32_e32 v5, v5, v9
	v_add_co_ci_u32_e32 v1, vcc_lo, s11, v1, vcc_lo
	v_mul_u32_u24_e32 v12, 0x5a0, v14
	v_lshlrev_b32_e32 v4, 2, v4
	v_add_co_u32 v0, vcc_lo, v0, v2
	v_mad_u32_u24 v31, 0xb40, v8, v5
	v_add_co_ci_u32_e32 v1, vcc_lo, v1, v3, vcc_lo
	v_sub_nc_u32_e32 v12, v6, v12
	v_add_co_u32 v2, vcc_lo, v0, v4
	v_lshlrev_b64 v[4:5], 2, v[31:32]
	v_add_nc_u32_e32 v31, 0x5a0, v31
	v_mul_hi_u32 v97, 0x5b05b06, v13
	v_mul_u32_u24_e32 v13, 0x5a0, v16
	v_add_co_ci_u32_e32 v3, vcc_lo, 0, v1, vcc_lo
	v_lshlrev_b64 v[8:9], 2, v[31:32]
	v_mad_u32_u24 v31, 0xb40, v14, v12
	v_add_co_u32 v6, vcc_lo, 0x1000, v2
	v_sub_nc_u32_e32 v17, v7, v13
	v_add_co_ci_u32_e32 v7, vcc_lo, 0, v3, vcc_lo
	v_lshlrev_b64 v[12:13], 2, v[31:32]
	v_add_nc_u32_e32 v31, 0x5a0, v31
	v_add_co_u32 v4, vcc_lo, v0, v4
	v_add_co_ci_u32_e32 v5, vcc_lo, v1, v5, vcc_lo
	v_add_co_u32 v8, vcc_lo, v0, v8
	v_lshlrev_b64 v[14:15], 2, v[31:32]
	v_add_co_ci_u32_e32 v9, vcc_lo, v1, v9, vcc_lo
	v_add_nc_u32_e32 v22, 0x1e0, v20
	v_add_co_u32 v12, vcc_lo, v0, v12
	v_mad_u32_u24 v31, 0xb40, v16, v17
	v_add_co_ci_u32_e32 v13, vcc_lo, v1, v13, vcc_lo
	v_add_co_u32 v14, vcc_lo, v0, v14
	v_add_co_ci_u32_e32 v15, vcc_lo, v1, v15, vcc_lo
	v_lshlrev_b64 v[16:17], 2, v[31:32]
	v_add_nc_u32_e32 v31, 0x5a0, v31
	v_mul_u32_u24_e32 v23, 0x5a0, v97
	s_waitcnt vmcnt(14) lgkmcnt(26)
	v_mul_f16_sdwa v98, v63, v70 dst_sel:DWORD dst_unused:UNUSED_PAD src0_sel:WORD_1 src1_sel:DWORD
	s_waitcnt vmcnt(13) lgkmcnt(25)
	v_mul_f16_sdwa v100, v26, v71 dst_sel:DWORD dst_unused:UNUSED_PAD src0_sel:WORD_1 src1_sel:DWORD
	v_mul_f16_sdwa v101, v61, v26 dst_sel:DWORD dst_unused:UNUSED_PAD src0_sel:DWORD src1_sel:WORD_1
	v_mul_f16_sdwa v99, v62, v63 dst_sel:DWORD dst_unused:UNUSED_PAD src0_sel:DWORD src1_sel:WORD_1
	s_waitcnt vmcnt(10) lgkmcnt(22)
	v_mul_f16_sdwa v106, v64, v74 dst_sel:DWORD dst_unused:UNUSED_PAD src0_sel:WORD_1 src1_sel:DWORD
	v_fmac_f16_e32 v98, v62, v63
	v_mul_f16_sdwa v62, v58, v64 dst_sel:DWORD dst_unused:UNUSED_PAD src0_sel:DWORD src1_sel:WORD_1
	v_fmac_f16_e32 v100, v61, v26
	s_waitcnt vmcnt(8) lgkmcnt(14)
	v_mul_f16_sdwa v61, v66, v82 dst_sel:DWORD dst_unused:UNUSED_PAD src0_sel:WORD_1 src1_sel:DWORD
	v_fma_f16 v26, v26, v71, -v101
	v_mul_f16_sdwa v71, v56, v66 dst_sel:DWORD dst_unused:UNUSED_PAD src0_sel:DWORD src1_sel:WORD_1
	v_fma_f16 v63, v63, v70, -v99
	v_mul_f16_sdwa v70, v65, v81 dst_sel:DWORD dst_unused:UNUSED_PAD src0_sel:WORD_1 src1_sel:DWORD
	v_mul_f16_sdwa v99, v57, v65 dst_sel:DWORD dst_unused:UNUSED_PAD src0_sel:DWORD src1_sel:WORD_1
	v_fmac_f16_e32 v106, v58, v64
	v_fma_f16 v62, v64, v74, -v62
	v_fmac_f16_e32 v61, v56, v66
	v_fma_f16 v66, v66, v82, -v71
	v_mul_f16_sdwa v104, v10, v73 dst_sel:DWORD dst_unused:UNUSED_PAD src0_sel:WORD_1 src1_sel:DWORD
	v_mul_f16_sdwa v105, v59, v10 dst_sel:DWORD dst_unused:UNUSED_PAD src0_sel:DWORD src1_sel:WORD_1
	v_fmac_f16_e32 v70, v57, v65
	v_fma_f16 v65, v65, v81, -v99
	v_mul_f16_sdwa v102, v27, v72 dst_sel:DWORD dst_unused:UNUSED_PAD src0_sel:WORD_1 src1_sel:DWORD
	v_mul_f16_sdwa v103, v60, v27 dst_sel:DWORD dst_unused:UNUSED_PAD src0_sel:DWORD src1_sel:WORD_1
	v_fmac_f16_e32 v104, v59, v10
	v_fma_f16 v10, v10, v73, -v105
	v_sub_f16_e32 v26, v78, v26
	v_fmac_f16_e32 v102, v60, v27
	v_fma_f16 v27, v27, v72, -v103
	s_waitcnt vmcnt(7) lgkmcnt(13)
	v_mul_f16_sdwa v101, v28, v83 dst_sel:DWORD dst_unused:UNUSED_PAD src0_sel:WORD_1 src1_sel:DWORD
	v_mul_f16_sdwa v60, v55, v28 dst_sel:DWORD dst_unused:UNUSED_PAD src0_sel:DWORD src1_sel:WORD_1
	v_sub_f16_e32 v61, v42, v61
	s_waitcnt vmcnt(6) lgkmcnt(12)
	v_mul_f16_sdwa v72, v35, v84 dst_sel:DWORD dst_unused:UNUSED_PAD src0_sel:WORD_1 src1_sel:DWORD
	s_waitcnt vmcnt(5) lgkmcnt(11)
	v_mul_f16_sdwa v59, v36, v85 dst_sel:DWORD dst_unused:UNUSED_PAD src0_sel:WORD_1 src1_sel:DWORD
	v_mul_f16_sdwa v73, v53, v36 dst_sel:DWORD dst_unused:UNUSED_PAD src0_sel:DWORD src1_sel:WORD_1
	s_waitcnt vmcnt(3) lgkmcnt(9)
	v_mul_f16_sdwa v64, v18, v87 dst_sel:DWORD dst_unused:UNUSED_PAD src0_sel:WORD_1 src1_sel:DWORD
	s_waitcnt vmcnt(2) lgkmcnt(8)
	v_mul_f16_sdwa v57, v29, v88 dst_sel:DWORD dst_unused:UNUSED_PAD src0_sel:WORD_1 src1_sel:DWORD
	;; [unrolled: 2-line block ×3, first 2 shown]
	v_mul_f16_sdwa v82, v51, v69 dst_sel:DWORD dst_unused:UNUSED_PAD src0_sel:DWORD src1_sel:WORD_1
	v_mul_f16_sdwa v99, v68, v89 dst_sel:DWORD dst_unused:UNUSED_PAD src0_sel:WORD_1 src1_sel:DWORD
	v_mul_f16_sdwa v56, v52, v68 dst_sel:DWORD dst_unused:UNUSED_PAD src0_sel:DWORD src1_sel:WORD_1
	v_mul_f16_sdwa v81, v48, v29 dst_sel:DWORD dst_unused:UNUSED_PAD src0_sel:DWORD src1_sel:WORD_1
	;; [unrolled: 1-line block ×3, first 2 shown]
	v_fmac_f16_e32 v64, v49, v18
	v_fmac_f16_e32 v71, v51, v69
	v_fma_f16 v49, v69, v90, -v82
	v_fmac_f16_e32 v57, v48, v29
	v_fmac_f16_e32 v99, v52, v68
	v_fma_f16 v48, v68, v89, -v56
	v_fma_f16 v29, v29, v88, -v81
	v_sub_f16_e32 v69, v11, v71
	s_waitcnt lgkmcnt(0)
	v_sub_f16_e32 v49, v33, v49
	v_sub_f16_e32 v56, v79, v10
	;; [unrolled: 1-line block ×4, first 2 shown]
	v_fmac_f16_e32 v72, v54, v35
	v_sub_f16_e32 v52, v77, v63
	v_sub_f16_e32 v27, v75, v27
	;; [unrolled: 1-line block ×5, first 2 shown]
	v_fma_f16 v11, v11, 2.0, -v69
	v_fma_f16 v33, v33, 2.0, -v49
	v_fmac_f16_e32 v59, v53, v36
	v_fma_f16 v36, v36, v85, -v73
	v_fma_f16 v73, v79, 2.0, -v56
	v_fma_f16 v19, v19, 2.0, -v68
	;; [unrolled: 1-line block ×3, first 2 shown]
	v_sub_f16_e32 v65, v76, v66
	v_sub_f16_e32 v66, v45, v72
	v_fma_f16 v72, v75, 2.0, -v27
	v_fma_f16 v75, v80, 2.0, -v63
	;; [unrolled: 1-line block ×4, first 2 shown]
	v_pack_b32_f16 v49, v69, v49
	v_pack_b32_f16 v11, v11, v33
	;; [unrolled: 1-line block ×3, first 2 shown]
	v_fma_f16 v18, v18, v87, -v74
	v_pack_b32_f16 v48, v68, v48
	v_pack_b32_f16 v21, v21, v80
	;; [unrolled: 1-line block ×3, first 2 shown]
	global_store_dword v[6:7], v49, off offset:1664
	global_store_dword v[2:3], v11, off
	global_store_dword v[4:5], v19, off
	;; [unrolled: 1-line block ×5, first 2 shown]
	v_lshrrev_b32_e32 v7, 5, v22
	v_sub_f16_e32 v64, v30, v64
	v_sub_f16_e32 v18, v93, v18
	v_lshlrev_b64 v[2:3], 2, v[31:32]
	v_fma_f16 v71, v78, 2.0, -v26
	v_mul_hi_u32 v9, 0x5b05b06, v7
	v_fma_f16 v30, v30, 2.0, -v64
	v_fma_f16 v78, v93, 2.0, -v18
	v_sub_nc_u32_e32 v6, v96, v23
	v_add_co_u32 v4, vcc_lo, v0, v16
	v_mul_f16_sdwa v105, v67, v86 dst_sel:DWORD dst_unused:UNUSED_PAD src0_sel:WORD_1 src1_sel:DWORD
	v_mul_f16_sdwa v58, v50, v67 dst_sel:DWORD dst_unused:UNUSED_PAD src0_sel:DWORD src1_sel:WORD_1
	v_add_co_ci_u32_e32 v5, vcc_lo, v1, v17, vcc_lo
	v_add_co_u32 v2, vcc_lo, v0, v2
	v_pack_b32_f16 v8, v30, v78
	v_mad_u32_u24 v31, 0xb40, v97, v6
	v_mul_u32_u24_e32 v12, 0x5a0, v9
	v_add_nc_u32_e32 v13, 0x240, v20
	v_add_co_ci_u32_e32 v3, vcc_lo, v1, v3, vcc_lo
	v_pack_b32_f16 v11, v64, v18
	v_fmac_f16_e32 v105, v50, v67
	v_fma_f16 v50, v67, v86, -v58
	v_lshlrev_b64 v[6:7], 2, v[31:32]
	v_add_nc_u32_e32 v31, 0x5a0, v31
	global_store_dword v[4:5], v8, off
	global_store_dword v[2:3], v11, off
	v_sub_nc_u32_e32 v8, v22, v12
	v_lshrrev_b32_e32 v11, 5, v13
	v_sub_f16_e32 v67, v43, v105
	v_sub_f16_e32 v50, v34, v50
	v_lshlrev_b64 v[2:3], 2, v[31:32]
	v_mad_u32_u24 v31, 0xb40, v9, v8
	v_mul_hi_u32 v8, 0x5b05b06, v11
	v_fma_f16 v43, v43, 2.0, -v67
	v_fma_f16 v34, v34, 2.0, -v50
	v_add_co_u32 v4, vcc_lo, v0, v6
	v_add_co_ci_u32_e32 v5, vcc_lo, v1, v7, vcc_lo
	v_add_nc_u32_e32 v9, 0x2a0, v20
	v_add_co_u32 v2, vcc_lo, v0, v2
	v_pack_b32_f16 v12, v43, v34
	v_mul_u32_u24_e32 v14, 0x5a0, v8
	v_add_co_ci_u32_e32 v3, vcc_lo, v1, v3, vcc_lo
	v_pack_b32_f16 v11, v67, v50
	v_lshrrev_b32_e32 v15, 5, v9
	v_lshlrev_b64 v[6:7], 2, v[31:32]
	v_add_nc_u32_e32 v31, 0x5a0, v31
	global_store_dword v[4:5], v12, off
	global_store_dword v[2:3], v11, off
	v_sub_nc_u32_e32 v11, v13, v14
	v_mul_hi_u32 v12, 0x5b05b06, v15
	v_mul_f16_sdwa v103, v54, v35 dst_sel:DWORD dst_unused:UNUSED_PAD src0_sel:DWORD src1_sel:WORD_1
	v_lshlrev_b64 v[2:3], 2, v[31:32]
	v_sub_f16_e32 v59, v37, v59
	v_mad_u32_u24 v31, 0xb40, v8, v11
	v_add_nc_u32_e32 v11, 0x300, v20
	v_sub_f16_e32 v36, v92, v36
	v_fmac_f16_e32 v101, v55, v28
	v_mul_u32_u24_e32 v8, 0x5a0, v12
	v_fma_f16 v28, v28, v83, -v60
	v_lshrrev_b32_e32 v16, 5, v11
	v_fma_f16 v35, v35, v84, -v103
	v_sub_f16_e32 v60, v91, v62
	v_sub_f16_e32 v62, v40, v70
	v_fma_f16 v70, v77, 2.0, -v52
	v_fma_f16 v37, v37, 2.0, -v59
	;; [unrolled: 1-line block ×3, first 2 shown]
	v_add_co_u32 v4, vcc_lo, v0, v6
	v_mul_hi_u32 v16, 0x5b05b06, v16
	v_add_co_ci_u32_e32 v5, vcc_lo, v1, v7, vcc_lo
	v_lshlrev_b64 v[6:7], 2, v[31:32]
	v_add_nc_u32_e32 v31, 0x5a0, v31
	v_sub_nc_u32_e32 v15, v9, v8
	v_add_co_u32 v2, vcc_lo, v0, v2
	v_sub_f16_e32 v35, v25, v35
	v_pack_b32_f16 v13, v37, v77
	v_add_co_ci_u32_e32 v3, vcc_lo, v1, v3, vcc_lo
	v_pack_b32_f16 v14, v59, v36
	v_lshlrev_b64 v[8:9], 2, v[31:32]
	v_mad_u32_u24 v31, 0xb40, v12, v15
	v_add_nc_u32_e32 v12, 0x360, v20
	v_fma_f16 v45, v45, 2.0, -v66
	v_fma_f16 v25, v25, 2.0, -v35
	global_store_dword v[4:5], v13, off
	global_store_dword v[2:3], v14, off
	v_mul_u32_u24_e32 v13, 0x5a0, v16
	v_add_co_u32 v6, vcc_lo, v0, v6
	v_lshrrev_b32_e32 v14, 5, v12
	v_add_co_ci_u32_e32 v7, vcc_lo, v1, v7, vcc_lo
	v_pack_b32_f16 v17, v45, v25
	v_lshlrev_b64 v[2:3], 2, v[31:32]
	v_add_nc_u32_e32 v31, 0x5a0, v31
	v_add_co_u32 v4, vcc_lo, v0, v8
	v_sub_nc_u32_e32 v8, v11, v13
	v_mul_hi_u32 v13, 0x5b05b06, v14
	global_store_dword v[6:7], v17, off
	v_lshlrev_b64 v[6:7], 2, v[31:32]
	v_sub_f16_e32 v10, v38, v101
	v_mad_u32_u24 v31, 0xb40, v16, v8
	v_add_nc_u32_e32 v16, 0x3c0, v20
	v_sub_f16_e32 v28, v24, v28
	v_add_co_ci_u32_e32 v5, vcc_lo, v1, v9, vcc_lo
	v_mul_u32_u24_e32 v11, 0x5a0, v13
	v_lshrrev_b32_e32 v18, 5, v16
	v_add_co_u32 v2, vcc_lo, v0, v2
	v_lshlrev_b64 v[8:9], 2, v[31:32]
	v_fma_f16 v38, v38, 2.0, -v10
	v_fma_f16 v24, v24, 2.0, -v28
	v_add_co_ci_u32_e32 v3, vcc_lo, v1, v3, vcc_lo
	v_add_nc_u32_e32 v31, 0x5a0, v31
	v_mul_hi_u32 v18, 0x5b05b06, v18
	v_fma_f16 v42, v42, 2.0, -v61
	v_fma_f16 v76, v76, 2.0, -v65
	v_add_co_u32 v6, vcc_lo, v0, v6
	v_sub_nc_u32_e32 v12, v12, v11
	v_pack_b32_f16 v15, v66, v35
	v_add_co_ci_u32_e32 v7, vcc_lo, v1, v7, vcc_lo
	v_pack_b32_f16 v14, v38, v24
	v_add_co_u32 v8, vcc_lo, v0, v8
	v_pack_b32_f16 v17, v10, v28
	v_lshlrev_b64 v[10:11], 2, v[31:32]
	v_add_co_ci_u32_e32 v9, vcc_lo, v1, v9, vcc_lo
	v_pack_b32_f16 v19, v42, v76
	v_mad_u32_u24 v31, 0xb40, v13, v12
	global_store_dword v[4:5], v15, off
	global_store_dword v[2:3], v14, off
	;; [unrolled: 1-line block ×4, first 2 shown]
	v_mul_u32_u24_e32 v8, 0x5a0, v18
	v_add_co_u32 v4, vcc_lo, v0, v10
	v_lshlrev_b64 v[2:3], 2, v[31:32]
	v_add_nc_u32_e32 v31, 0x5a0, v31
	v_add_co_ci_u32_e32 v5, vcc_lo, v1, v11, vcc_lo
	v_sub_nc_u32_e32 v8, v16, v8
	v_add_nc_u32_e32 v11, 0x420, v20
	v_lshlrev_b64 v[6:7], 2, v[31:32]
	v_fma_f16 v40, v40, 2.0, -v62
	v_pack_b32_f16 v10, v61, v65
	v_mad_u32_u24 v31, 0xb40, v18, v8
	v_lshrrev_b32_e32 v8, 5, v11
	v_add_co_u32 v2, vcc_lo, v0, v2
	v_add_co_ci_u32_e32 v3, vcc_lo, v1, v3, vcc_lo
	v_add_co_u32 v6, vcc_lo, v0, v6
	v_pack_b32_f16 v12, v40, v75
	v_mul_hi_u32 v14, 0x5b05b06, v8
	global_store_dword v[4:5], v10, off
	v_add_nc_u32_e32 v10, 0x480, v20
	v_add_co_ci_u32_e32 v7, vcc_lo, v1, v7, vcc_lo
	v_pack_b32_f16 v13, v62, v63
	v_sub_f16_e32 v58, v39, v106
	v_lshlrev_b64 v[8:9], 2, v[31:32]
	v_add_nc_u32_e32 v31, 0x5a0, v31
	global_store_dword v[2:3], v12, off
	global_store_dword v[6:7], v13, off
	v_lshrrev_b32_e32 v7, 5, v10
	v_fma_f16 v39, v39, 2.0, -v58
	v_fma_f16 v74, v91, 2.0, -v60
	v_mul_u32_u24_e32 v6, 0x5a0, v14
	v_lshlrev_b64 v[2:3], 2, v[31:32]
	v_mul_hi_u32 v7, 0x5b05b06, v7
	v_add_co_u32 v4, vcc_lo, v0, v8
	v_add_co_ci_u32_e32 v5, vcc_lo, v1, v9, vcc_lo
	v_pack_b32_f16 v8, v39, v74
	v_sub_nc_u32_e32 v6, v11, v6
	v_add_co_u32 v2, vcc_lo, v0, v2
	v_add_co_ci_u32_e32 v3, vcc_lo, v1, v3, vcc_lo
	v_mad_u32_u24 v31, 0xb40, v14, v6
	v_pack_b32_f16 v6, v58, v60
	global_store_dword v[4:5], v8, off
	v_mul_u32_u24_e32 v8, 0x5a0, v7
	v_add_nc_u32_e32 v9, 0x4e0, v20
	v_lshlrev_b64 v[4:5], 2, v[31:32]
	global_store_dword v[2:3], v6, off
	v_add_nc_u32_e32 v12, 0x540, v20
	v_sub_nc_u32_e32 v6, v10, v8
	v_lshrrev_b32_e32 v8, 5, v9
	v_add_nc_u32_e32 v31, 0x5a0, v31
	v_add_co_u32 v2, vcc_lo, v0, v4
	v_lshrrev_b32_e32 v13, 5, v12
	v_mul_hi_u32 v10, 0x5b05b06, v8
	v_sub_f16_e32 v55, v41, v104
	v_add_co_ci_u32_e32 v3, vcc_lo, v1, v5, vcc_lo
	v_lshlrev_b64 v[4:5], 2, v[31:32]
	v_mad_u32_u24 v31, 0xb40, v7, v6
	v_mul_hi_u32 v13, 0x5b05b06, v13
	v_fma_f16 v41, v41, 2.0, -v55
	v_mul_u32_u24_e32 v8, 0x5a0, v10
	v_sub_f16_e32 v54, v46, v102
	v_lshlrev_b64 v[6:7], 2, v[31:32]
	v_add_nc_u32_e32 v31, 0x5a0, v31
	v_pack_b32_f16 v11, v41, v73
	v_sub_nc_u32_e32 v15, v9, v8
	v_fma_f16 v46, v46, 2.0, -v54
	v_add_co_u32 v4, vcc_lo, v0, v4
	v_lshlrev_b64 v[8:9], 2, v[31:32]
	v_mad_u32_u24 v31, 0xb40, v10, v15
	v_mul_u32_u24_e32 v10, 0x5a0, v13
	v_add_co_ci_u32_e32 v5, vcc_lo, v1, v5, vcc_lo
	v_add_co_u32 v6, vcc_lo, v0, v6
	v_pack_b32_f16 v14, v55, v56
	global_store_dword v[2:3], v11, off
	v_lshlrev_b64 v[2:3], 2, v[31:32]
	v_add_nc_u32_e32 v31, 0x5a0, v31
	v_sub_nc_u32_e32 v10, v12, v10
	v_add_co_ci_u32_e32 v7, vcc_lo, v1, v7, vcc_lo
	v_pack_b32_f16 v16, v46, v72
	global_store_dword v[4:5], v14, off
	global_store_dword v[6:7], v16, off
	v_lshlrev_b64 v[6:7], 2, v[31:32]
	v_mad_u32_u24 v31, 0xb40, v13, v10
	v_add_co_u32 v4, vcc_lo, v0, v8
	v_sub_f16_e32 v53, v44, v100
	v_add_co_ci_u32_e32 v5, vcc_lo, v1, v9, vcc_lo
	v_lshlrev_b64 v[8:9], 2, v[31:32]
	v_add_nc_u32_e32 v31, 0x5a0, v31
	v_sub_f16_e32 v51, v47, v98
	v_add_co_u32 v2, vcc_lo, v0, v2
	v_add_co_ci_u32_e32 v3, vcc_lo, v1, v3, vcc_lo
	v_fma_f16 v44, v44, 2.0, -v53
	v_add_co_u32 v6, vcc_lo, v0, v6
	v_lshlrev_b64 v[10:11], 2, v[31:32]
	v_fma_f16 v47, v47, 2.0, -v51
	v_add_co_ci_u32_e32 v7, vcc_lo, v1, v7, vcc_lo
	v_add_co_u32 v8, vcc_lo, v0, v8
	v_pack_b32_f16 v12, v54, v27
	v_pack_b32_f16 v13, v44, v71
	v_add_co_ci_u32_e32 v9, vcc_lo, v1, v9, vcc_lo
	v_pack_b32_f16 v14, v53, v26
	v_add_co_u32 v0, vcc_lo, v0, v10
	v_pack_b32_f16 v15, v47, v70
	v_add_co_ci_u32_e32 v1, vcc_lo, v1, v11, vcc_lo
	v_pack_b32_f16 v10, v51, v52
	global_store_dword v[4:5], v12, off
	global_store_dword v[2:3], v13, off
	;; [unrolled: 1-line block ×5, first 2 shown]
.LBB0_15:
	s_endpgm
	.section	.rodata,"a",@progbits
	.p2align	6, 0x0
	.amdhsa_kernel fft_rtc_back_len2880_factors_10_6_6_2_2_2_wgs_96_tpt_96_halfLds_half_op_CI_CI_unitstride_sbrr_dirReg
		.amdhsa_group_segment_fixed_size 0
		.amdhsa_private_segment_fixed_size 0
		.amdhsa_kernarg_size 104
		.amdhsa_user_sgpr_count 6
		.amdhsa_user_sgpr_private_segment_buffer 1
		.amdhsa_user_sgpr_dispatch_ptr 0
		.amdhsa_user_sgpr_queue_ptr 0
		.amdhsa_user_sgpr_kernarg_segment_ptr 1
		.amdhsa_user_sgpr_dispatch_id 0
		.amdhsa_user_sgpr_flat_scratch_init 0
		.amdhsa_user_sgpr_private_segment_size 0
		.amdhsa_wavefront_size32 1
		.amdhsa_uses_dynamic_stack 0
		.amdhsa_system_sgpr_private_segment_wavefront_offset 0
		.amdhsa_system_sgpr_workgroup_id_x 1
		.amdhsa_system_sgpr_workgroup_id_y 0
		.amdhsa_system_sgpr_workgroup_id_z 0
		.amdhsa_system_sgpr_workgroup_info 0
		.amdhsa_system_vgpr_workitem_id 0
		.amdhsa_next_free_vgpr 108
		.amdhsa_next_free_sgpr 27
		.amdhsa_reserve_vcc 1
		.amdhsa_reserve_flat_scratch 0
		.amdhsa_float_round_mode_32 0
		.amdhsa_float_round_mode_16_64 0
		.amdhsa_float_denorm_mode_32 3
		.amdhsa_float_denorm_mode_16_64 3
		.amdhsa_dx10_clamp 1
		.amdhsa_ieee_mode 1
		.amdhsa_fp16_overflow 0
		.amdhsa_workgroup_processor_mode 1
		.amdhsa_memory_ordered 1
		.amdhsa_forward_progress 0
		.amdhsa_shared_vgpr_count 0
		.amdhsa_exception_fp_ieee_invalid_op 0
		.amdhsa_exception_fp_denorm_src 0
		.amdhsa_exception_fp_ieee_div_zero 0
		.amdhsa_exception_fp_ieee_overflow 0
		.amdhsa_exception_fp_ieee_underflow 0
		.amdhsa_exception_fp_ieee_inexact 0
		.amdhsa_exception_int_div_zero 0
	.end_amdhsa_kernel
	.text
.Lfunc_end0:
	.size	fft_rtc_back_len2880_factors_10_6_6_2_2_2_wgs_96_tpt_96_halfLds_half_op_CI_CI_unitstride_sbrr_dirReg, .Lfunc_end0-fft_rtc_back_len2880_factors_10_6_6_2_2_2_wgs_96_tpt_96_halfLds_half_op_CI_CI_unitstride_sbrr_dirReg
                                        ; -- End function
	.section	.AMDGPU.csdata,"",@progbits
; Kernel info:
; codeLenInByte = 21000
; NumSgprs: 29
; NumVgprs: 108
; ScratchSize: 0
; MemoryBound: 0
; FloatMode: 240
; IeeeMode: 1
; LDSByteSize: 0 bytes/workgroup (compile time only)
; SGPRBlocks: 3
; VGPRBlocks: 13
; NumSGPRsForWavesPerEU: 29
; NumVGPRsForWavesPerEU: 108
; Occupancy: 9
; WaveLimiterHint : 1
; COMPUTE_PGM_RSRC2:SCRATCH_EN: 0
; COMPUTE_PGM_RSRC2:USER_SGPR: 6
; COMPUTE_PGM_RSRC2:TRAP_HANDLER: 0
; COMPUTE_PGM_RSRC2:TGID_X_EN: 1
; COMPUTE_PGM_RSRC2:TGID_Y_EN: 0
; COMPUTE_PGM_RSRC2:TGID_Z_EN: 0
; COMPUTE_PGM_RSRC2:TIDIG_COMP_CNT: 0
	.text
	.p2alignl 6, 3214868480
	.fill 48, 4, 3214868480
	.type	__hip_cuid_12a854c9167a760f,@object ; @__hip_cuid_12a854c9167a760f
	.section	.bss,"aw",@nobits
	.globl	__hip_cuid_12a854c9167a760f
__hip_cuid_12a854c9167a760f:
	.byte	0                               ; 0x0
	.size	__hip_cuid_12a854c9167a760f, 1

	.ident	"AMD clang version 19.0.0git (https://github.com/RadeonOpenCompute/llvm-project roc-6.4.0 25133 c7fe45cf4b819c5991fe208aaa96edf142730f1d)"
	.section	".note.GNU-stack","",@progbits
	.addrsig
	.addrsig_sym __hip_cuid_12a854c9167a760f
	.amdgpu_metadata
---
amdhsa.kernels:
  - .args:
      - .actual_access:  read_only
        .address_space:  global
        .offset:         0
        .size:           8
        .value_kind:     global_buffer
      - .offset:         8
        .size:           8
        .value_kind:     by_value
      - .actual_access:  read_only
        .address_space:  global
        .offset:         16
        .size:           8
        .value_kind:     global_buffer
      - .actual_access:  read_only
        .address_space:  global
        .offset:         24
        .size:           8
        .value_kind:     global_buffer
      - .actual_access:  read_only
        .address_space:  global
        .offset:         32
        .size:           8
        .value_kind:     global_buffer
      - .offset:         40
        .size:           8
        .value_kind:     by_value
      - .actual_access:  read_only
        .address_space:  global
        .offset:         48
        .size:           8
        .value_kind:     global_buffer
      - .actual_access:  read_only
        .address_space:  global
        .offset:         56
        .size:           8
        .value_kind:     global_buffer
      - .offset:         64
        .size:           4
        .value_kind:     by_value
      - .actual_access:  read_only
        .address_space:  global
        .offset:         72
        .size:           8
        .value_kind:     global_buffer
      - .actual_access:  read_only
        .address_space:  global
        .offset:         80
        .size:           8
        .value_kind:     global_buffer
      - .actual_access:  read_only
        .address_space:  global
        .offset:         88
        .size:           8
        .value_kind:     global_buffer
      - .actual_access:  write_only
        .address_space:  global
        .offset:         96
        .size:           8
        .value_kind:     global_buffer
    .group_segment_fixed_size: 0
    .kernarg_segment_align: 8
    .kernarg_segment_size: 104
    .language:       OpenCL C
    .language_version:
      - 2
      - 0
    .max_flat_workgroup_size: 96
    .name:           fft_rtc_back_len2880_factors_10_6_6_2_2_2_wgs_96_tpt_96_halfLds_half_op_CI_CI_unitstride_sbrr_dirReg
    .private_segment_fixed_size: 0
    .sgpr_count:     29
    .sgpr_spill_count: 0
    .symbol:         fft_rtc_back_len2880_factors_10_6_6_2_2_2_wgs_96_tpt_96_halfLds_half_op_CI_CI_unitstride_sbrr_dirReg.kd
    .uniform_work_group_size: 1
    .uses_dynamic_stack: false
    .vgpr_count:     108
    .vgpr_spill_count: 0
    .wavefront_size: 32
    .workgroup_processor_mode: 1
amdhsa.target:   amdgcn-amd-amdhsa--gfx1030
amdhsa.version:
  - 1
  - 2
...

	.end_amdgpu_metadata
